;; amdgpu-corpus repo=ROCm/rocFFT kind=compiled arch=gfx906 opt=O3
	.text
	.amdgcn_target "amdgcn-amd-amdhsa--gfx906"
	.amdhsa_code_object_version 6
	.protected	bluestein_single_fwd_len1500_dim1_dp_op_CI_CI ; -- Begin function bluestein_single_fwd_len1500_dim1_dp_op_CI_CI
	.globl	bluestein_single_fwd_len1500_dim1_dp_op_CI_CI
	.p2align	8
	.type	bluestein_single_fwd_len1500_dim1_dp_op_CI_CI,@function
bluestein_single_fwd_len1500_dim1_dp_op_CI_CI: ; @bluestein_single_fwd_len1500_dim1_dp_op_CI_CI
; %bb.0:
	s_load_dwordx4 s[16:19], s[4:5], 0x28
	v_mul_u32_u24_e32 v1, 0x1b5, v0
	v_add_u32_sdwa v192, s6, v1 dst_sel:DWORD dst_unused:UNUSED_PAD src0_sel:DWORD src1_sel:WORD_1
	v_mov_b32_e32 v193, 0
	s_waitcnt lgkmcnt(0)
	v_cmp_gt_u64_e32 vcc, s[16:17], v[192:193]
	s_and_saveexec_b64 s[0:1], vcc
	s_cbranch_execz .LBB0_10
; %bb.1:
	s_load_dwordx4 s[0:3], s[4:5], 0x18
	s_load_dwordx4 s[12:15], s[4:5], 0x0
	s_movk_i32 s6, 0x96
	v_mul_lo_u16_sdwa v1, v1, s6 dst_sel:DWORD dst_unused:UNUSED_PAD src0_sel:WORD_1 src1_sel:DWORD
	v_sub_u16_e32 v194, v0, v1
	s_waitcnt lgkmcnt(0)
	s_load_dwordx4 s[8:11], s[0:1], 0x0
	v_lshlrev_b32_e32 v193, 4, v194
	s_movk_i32 s22, 0x1000
	s_movk_i32 s7, 0x2000
	s_mov_b32 s17, 0xbfe2cf23
	s_waitcnt lgkmcnt(0)
	v_mad_u64_u32 v[0:1], s[0:1], s10, v192, 0
	v_mad_u64_u32 v[2:3], s[0:1], s8, v194, 0
	s_movk_i32 s20, 0xcd
	s_movk_i32 s23, 0x90
	v_mad_u64_u32 v[4:5], s[0:1], s11, v192, v[1:2]
	v_mad_u64_u32 v[5:6], s[0:1], s9, v194, v[3:4]
	v_mov_b32_e32 v1, v4
	v_lshlrev_b64 v[0:1], 4, v[0:1]
	v_mov_b32_e32 v6, s19
	v_mov_b32_e32 v3, v5
	v_add_co_u32_e32 v4, vcc, s18, v0
	v_addc_co_u32_e32 v5, vcc, v6, v1, vcc
	v_lshlrev_b64 v[0:1], 4, v[2:3]
	v_mov_b32_e32 v2, s13
	v_add_co_u32_e32 v0, vcc, v4, v0
	v_addc_co_u32_e32 v1, vcc, v5, v1, vcc
	v_add_co_u32_e32 v80, vcc, s12, v193
	s_mul_i32 s0, s9, 0x12c0
	s_mul_hi_u32 s1, s8, 0x12c0
	v_addc_co_u32_e32 v81, vcc, 0, v2, vcc
	s_add_i32 s0, s1, s0
	s_mul_i32 s1, s8, 0x12c0
	v_mov_b32_e32 v2, s0
	v_add_co_u32_e32 v4, vcc, s1, v0
	v_addc_co_u32_e32 v5, vcc, v1, v2, vcc
	v_add_co_u32_e32 v24, vcc, s22, v80
	global_load_dwordx4 v[40:43], v[0:1], off
	global_load_dwordx4 v[44:47], v[4:5], off
	v_addc_co_u32_e32 v25, vcc, 0, v81, vcc
	global_load_dwordx4 v[36:39], v193, s[12:13]
	global_load_dwordx4 v[0:3], v[24:25], off offset:704
	v_mov_b32_e32 v6, s0
	v_add_co_u32_e32 v8, vcc, s1, v4
	v_addc_co_u32_e32 v9, vcc, v5, v6, vcc
	v_add_co_u32_e32 v28, vcc, s7, v80
	v_addc_co_u32_e32 v29, vcc, 0, v81, vcc
	global_load_dwordx4 v[4:7], v[28:29], off offset:1408
	v_mov_b32_e32 v10, s0
	v_add_co_u32_e32 v12, vcc, s1, v8
	v_addc_co_u32_e32 v13, vcc, v9, v10, vcc
	s_movk_i32 s7, 0x3000
	global_load_dwordx4 v[48:51], v[8:9], off
	global_load_dwordx4 v[52:55], v[12:13], off
	v_add_co_u32_e32 v8, vcc, s7, v80
	v_addc_co_u32_e32 v9, vcc, 0, v81, vcc
	v_mov_b32_e32 v14, s0
	v_add_co_u32_e32 v12, vcc, s1, v12
	v_addc_co_u32_e32 v13, vcc, v13, v14, vcc
	v_mov_b32_e32 v14, 0xffffbe60
	v_mad_u64_u32 v[20:21], s[10:11], s8, v14, v[12:13]
	s_movk_i32 s7, 0x4000
	v_add_co_u32_e32 v32, vcc, s7, v80
	s_mul_i32 s7, s9, 0xffffbe60
	v_addc_co_u32_e32 v33, vcc, 0, v81, vcc
	s_sub_i32 s7, s7, s8
	global_load_dwordx4 v[56:59], v[12:13], off
	global_load_dwordx4 v[16:19], v[32:33], off offset:2816
	v_add_u32_e32 v21, s7, v21
	global_load_dwordx4 v[8:11], v[8:9], off offset:2112
	s_nop 0
	global_load_dwordx4 v[60:63], v[20:21], off
	global_load_dwordx4 v[12:15], v193, s[12:13] offset:2400
	v_mov_b32_e32 v22, s0
	v_add_co_u32_e32 v26, vcc, s1, v20
	v_addc_co_u32_e32 v27, vcc, v21, v22, vcc
	global_load_dwordx4 v[64:67], v[26:27], off
	global_load_dwordx4 v[20:23], v[24:25], off offset:3104
	v_mov_b32_e32 v24, s0
	v_add_co_u32_e32 v30, vcc, s1, v26
	v_addc_co_u32_e32 v31, vcc, v27, v24, vcc
	global_load_dwordx4 v[68:71], v[30:31], off
	global_load_dwordx4 v[24:27], v[28:29], off offset:3808
	v_mov_b32_e32 v28, s0
	v_add_co_u32_e32 v34, vcc, s1, v30
	v_addc_co_u32_e32 v35, vcc, v31, v28, vcc
	global_load_dwordx4 v[72:75], v[34:35], off
	global_load_dwordx4 v[28:31], v[32:33], off offset:416
	v_mov_b32_e32 v33, s0
	v_add_co_u32_e32 v32, vcc, s1, v34
	v_addc_co_u32_e32 v33, vcc, v35, v33, vcc
	s_movk_i32 s0, 0x5000
	global_load_dwordx4 v[76:79], v[32:33], off
	v_add_co_u32_e32 v32, vcc, s0, v80
	v_addc_co_u32_e32 v33, vcc, 0, v81, vcc
	global_load_dwordx4 v[32:35], v[32:33], off offset:1120
	s_load_dwordx4 s[8:11], s[2:3], 0x0
	s_mov_b32 s0, 0x134454ff
	s_mov_b32 s1, 0x3fee6f0e
	;; [unrolled: 1-line block ×5, first 2 shown]
	s_waitcnt vmcnt(17)
	v_mul_f64 v[80:81], v[42:43], v[38:39]
	v_mul_f64 v[82:83], v[40:41], v[38:39]
	s_waitcnt vmcnt(16)
	v_mul_f64 v[84:85], v[46:47], v[2:3]
	v_mul_f64 v[86:87], v[44:45], v[2:3]
	s_mov_b32 s18, s0
	s_mov_b32 s16, s2
	v_fma_f64 v[40:41], v[40:41], v[36:37], v[80:81]
	v_fma_f64 v[42:43], v[42:43], v[36:37], -v[82:83]
	v_fma_f64 v[44:45], v[44:45], v[0:1], v[84:85]
	v_fma_f64 v[46:47], v[46:47], v[0:1], -v[86:87]
	ds_write_b128 v193, v[40:43]
	ds_write_b128 v193, v[44:47] offset:4800
	s_waitcnt vmcnt(14)
	v_mul_f64 v[40:41], v[50:51], v[6:7]
	v_mul_f64 v[42:43], v[48:49], v[6:7]
	v_fma_f64 v[40:41], v[48:49], v[4:5], v[40:41]
	v_fma_f64 v[42:43], v[50:51], v[4:5], -v[42:43]
	s_waitcnt vmcnt(11)
	v_mul_f64 v[80:81], v[58:59], v[18:19]
	v_mul_f64 v[82:83], v[56:57], v[18:19]
	s_waitcnt vmcnt(10)
	v_mul_f64 v[44:45], v[54:55], v[10:11]
	v_mul_f64 v[46:47], v[52:53], v[10:11]
	;; [unrolled: 3-line block ×3, first 2 shown]
	v_fma_f64 v[48:49], v[56:57], v[16:17], v[80:81]
	v_fma_f64 v[50:51], v[58:59], v[16:17], -v[82:83]
	s_waitcnt vmcnt(6)
	v_mul_f64 v[56:57], v[66:67], v[22:23]
	v_mul_f64 v[58:59], v[64:65], v[22:23]
	v_fma_f64 v[44:45], v[52:53], v[8:9], v[44:45]
	v_fma_f64 v[46:47], v[54:55], v[8:9], -v[46:47]
	v_fma_f64 v[52:53], v[60:61], v[12:13], v[84:85]
	v_fma_f64 v[54:55], v[62:63], v[12:13], -v[86:87]
	s_waitcnt vmcnt(4)
	v_mul_f64 v[60:61], v[70:71], v[26:27]
	v_mul_f64 v[62:63], v[68:69], v[26:27]
	v_fma_f64 v[56:57], v[64:65], v[20:21], v[56:57]
	v_fma_f64 v[58:59], v[66:67], v[20:21], -v[58:59]
	s_waitcnt vmcnt(2)
	v_mul_f64 v[80:81], v[74:75], v[30:31]
	v_mul_f64 v[82:83], v[72:73], v[30:31]
	v_fma_f64 v[60:61], v[68:69], v[24:25], v[60:61]
	v_fma_f64 v[62:63], v[70:71], v[24:25], -v[62:63]
	v_fma_f64 v[64:65], v[72:73], v[28:29], v[80:81]
	v_fma_f64 v[66:67], v[74:75], v[28:29], -v[82:83]
	s_waitcnt vmcnt(0)
	v_mul_f64 v[84:85], v[78:79], v[34:35]
	v_mul_f64 v[86:87], v[76:77], v[34:35]
	v_fma_f64 v[68:69], v[76:77], v[32:33], v[84:85]
	v_fma_f64 v[70:71], v[78:79], v[32:33], -v[86:87]
	ds_write_b128 v193, v[40:43] offset:9600
	ds_write_b128 v193, v[44:47] offset:14400
	;; [unrolled: 1-line block ×8, first 2 shown]
	s_waitcnt lgkmcnt(0)
	s_barrier
	ds_read_b128 v[43:46], v193 offset:4800
	ds_read_b128 v[47:50], v193
	ds_read_b128 v[51:54], v193 offset:9600
	ds_read_b128 v[55:58], v193 offset:14400
	;; [unrolled: 1-line block ×4, first 2 shown]
	s_waitcnt lgkmcnt(4)
	v_add_f64 v[40:41], v[47:48], v[43:44]
	ds_read_b128 v[67:70], v193 offset:12000
	ds_read_b128 v[71:74], v193 offset:16800
	s_waitcnt lgkmcnt(4)
	v_add_f64 v[79:80], v[51:52], v[55:56]
	ds_read_b128 v[75:78], v193 offset:19200
	v_add_f64 v[91:92], v[53:54], -v[57:58]
	v_add_f64 v[93:94], v[43:44], -v[51:52]
	;; [unrolled: 1-line block ×3, first 2 shown]
	v_add_co_u32_e32 v42, vcc, s6, v194
	v_add_f64 v[40:41], v[40:41], v[51:52]
	v_fma_f64 v[85:86], v[79:80], -0.5, v[47:48]
	ds_read_b128 v[79:82], v193 offset:21600
	s_waitcnt lgkmcnt(1)
	v_add_f64 v[87:88], v[45:46], -v[77:78]
	v_add_f64 v[95:96], v[75:76], -v[55:56]
	v_add_f64 v[97:98], v[43:44], v[75:76]
	v_add_f64 v[101:102], v[55:56], -v[75:76]
	s_mov_b32 s6, 0x372fe950
	v_add_f64 v[40:41], v[40:41], v[55:56]
	s_mov_b32 s7, 0x3fd3c6ef
	v_add_f64 v[103:104], v[77:78], -v[57:58]
	v_fma_f64 v[89:90], v[87:88], s[0:1], v[85:86]
	v_fma_f64 v[85:86], v[87:88], s[18:19], v[85:86]
	v_fma_f64 v[47:48], v[97:98], -0.5, v[47:48]
	v_add_f64 v[99:100], v[99:100], v[101:102]
	v_add_f64 v[101:102], v[45:46], v[77:78]
	v_add_f64 v[83:84], v[40:41], v[75:76]
	v_add_f64 v[75:76], v[43:44], -v[75:76]
	s_waitcnt lgkmcnt(0)
	v_fma_f64 v[40:41], v[91:92], s[2:3], v[89:90]
	v_add_f64 v[89:90], v[93:94], v[95:96]
	v_add_f64 v[93:94], v[49:50], v[45:46]
	;; [unrolled: 1-line block ×3, first 2 shown]
	v_fma_f64 v[97:98], v[91:92], s[18:19], v[47:48]
	v_fma_f64 v[85:86], v[91:92], s[16:17], v[85:86]
	;; [unrolled: 1-line block ×3, first 2 shown]
	s_barrier
	v_fma_f64 v[43:44], v[89:90], s[6:7], v[40:41]
	v_add_f64 v[93:94], v[93:94], v[53:54]
	v_fma_f64 v[95:96], v[95:96], -0.5, v[49:50]
	v_fma_f64 v[97:98], v[87:88], s[2:3], v[97:98]
	v_fma_f64 v[49:50], v[101:102], -0.5, v[49:50]
	v_fma_f64 v[87:88], v[87:88], s[16:17], v[91:92]
	v_add_f64 v[91:92], v[51:52], -v[55:56]
	v_fma_f64 v[47:48], v[89:90], s[6:7], v[85:86]
	v_add_f64 v[101:102], v[45:46], -v[53:54]
	v_add_f64 v[40:41], v[93:94], v[57:58]
	v_add_f64 v[93:94], v[67:68], v[71:72]
	v_fma_f64 v[89:90], v[75:76], s[18:19], v[95:96]
	v_fma_f64 v[51:52], v[99:100], s[6:7], v[97:98]
	;; [unrolled: 1-line block ×5, first 2 shown]
	v_add_f64 v[57:58], v[57:58], -v[77:78]
	v_add_f64 v[85:86], v[40:41], v[77:78]
	v_add_f64 v[40:41], v[53:54], -v[45:46]
	v_add_f64 v[45:46], v[59:60], v[63:64]
	v_fma_f64 v[87:88], v[93:94], -0.5, v[59:60]
	v_add_f64 v[93:94], v[65:66], -v[81:82]
	v_fma_f64 v[49:50], v[91:92], s[18:19], v[49:50]
	v_fma_f64 v[53:54], v[91:92], s[16:17], v[89:90]
	v_add_f64 v[89:90], v[101:102], v[103:104]
	v_add_f64 v[99:100], v[69:70], -v[73:74]
	v_add_f64 v[101:102], v[63:64], -v[67:68]
	v_add_f64 v[45:46], v[45:46], v[67:68]
	v_add_f64 v[103:104], v[79:80], -v[71:72]
	v_fma_f64 v[77:78], v[93:94], s[0:1], v[87:88]
	v_fma_f64 v[91:92], v[91:92], s[2:3], v[95:96]
	v_add_f64 v[95:96], v[63:64], v[79:80]
	v_fma_f64 v[97:98], v[75:76], s[16:17], v[97:98]
	v_add_f64 v[40:41], v[40:41], v[57:58]
	;; [unrolled: 2-line block ×3, first 2 shown]
	v_add_f64 v[101:102], v[101:102], v[103:104]
	v_fma_f64 v[77:78], v[99:100], s[2:3], v[77:78]
	v_fma_f64 v[45:46], v[89:90], s[6:7], v[53:54]
	v_fma_f64 v[95:96], v[95:96], -0.5, v[59:60]
	v_fma_f64 v[49:50], v[89:90], s[6:7], v[91:92]
	v_fma_f64 v[53:54], v[40:41], s[6:7], v[97:98]
	;; [unrolled: 1-line block ×3, first 2 shown]
	v_add_f64 v[40:41], v[69:70], v[73:74]
	v_add_f64 v[89:90], v[65:66], v[81:82]
	;; [unrolled: 1-line block ×3, first 2 shown]
	v_fma_f64 v[75:76], v[101:102], s[6:7], v[77:78]
	v_fma_f64 v[77:78], v[93:94], s[18:19], v[87:88]
	;; [unrolled: 1-line block ×3, first 2 shown]
	v_add_f64 v[91:92], v[67:68], -v[63:64]
	v_add_f64 v[97:98], v[71:72], -v[79:80]
	v_add_f64 v[103:104], v[61:62], v[65:66]
	v_fma_f64 v[40:41], v[40:41], -0.5, v[61:62]
	v_add_f64 v[63:64], v[63:64], -v[79:80]
	v_fma_f64 v[61:62], v[89:90], -0.5, v[61:62]
	v_add_f64 v[67:68], v[67:68], -v[71:72]
	v_fma_f64 v[79:80], v[93:94], s[2:3], v[87:88]
	v_fma_f64 v[87:88], v[99:100], s[0:1], v[95:96]
	v_add_f64 v[71:72], v[91:92], v[97:98]
	v_add_f64 v[89:90], v[103:104], v[69:70]
	v_add_f64 v[95:96], v[65:66], -v[69:70]
	v_fma_f64 v[91:92], v[63:64], s[18:19], v[40:41]
	v_add_f64 v[97:98], v[81:82], -v[73:74]
	v_fma_f64 v[40:41], v[63:64], s[0:1], v[40:41]
	v_fma_f64 v[77:78], v[99:100], s[16:17], v[77:78]
	v_add_f64 v[65:66], v[69:70], -v[65:66]
	v_fma_f64 v[69:70], v[67:68], s[0:1], v[61:62]
	v_add_f64 v[99:100], v[73:74], -v[81:82]
	v_fma_f64 v[61:62], v[67:68], s[18:19], v[61:62]
	v_add_f64 v[73:74], v[89:90], v[73:74]
	v_fma_f64 v[89:90], v[67:68], s[16:17], v[91:92]
	v_add_f64 v[91:92], v[95:96], v[97:98]
	v_fma_f64 v[40:41], v[67:68], s[2:3], v[40:41]
	v_fma_f64 v[87:88], v[93:94], s[16:17], v[87:88]
	;; [unrolled: 1-line block ×3, first 2 shown]
	v_add_f64 v[93:94], v[65:66], v[99:100]
	v_fma_f64 v[95:96], v[63:64], s[2:3], v[61:62]
	v_add_f64 v[61:62], v[73:74], v[81:82]
	v_fma_f64 v[63:64], v[101:102], s[6:7], v[77:78]
	v_fma_f64 v[77:78], v[91:92], s[6:7], v[89:90]
	;; [unrolled: 1-line block ×3, first 2 shown]
	v_mul_lo_u16_e32 v40, 5, v194
	v_lshlrev_b32_e32 v197, 4, v40
	v_mul_u32_u24_e32 v40, 5, v42
	v_lshlrev_b32_e32 v198, 4, v40
	v_mul_lo_u16_sdwa v40, v194, s20 dst_sel:DWORD dst_unused:UNUSED_PAD src0_sel:BYTE_0 src1_sel:DWORD
	ds_write_b128 v197, v[83:86]
	ds_write_b128 v197, v[43:46] offset:16
	ds_write_b128 v197, v[51:54] offset:32
	;; [unrolled: 1-line block ×4, first 2 shown]
	v_lshrrev_b16_e32 v43, 10, v40
	v_mul_lo_u16_e32 v40, 5, v43
	v_sub_u16_e32 v40, v194, v40
	v_fma_f64 v[67:68], v[71:72], s[6:7], v[79:80]
	v_fma_f64 v[69:70], v[93:94], s[6:7], v[69:70]
	v_and_b32_e32 v44, 0xff, v40
	v_mov_b32_e32 v41, s15
	v_fma_f64 v[71:72], v[71:72], s[6:7], v[87:88]
	v_fma_f64 v[73:74], v[93:94], s[6:7], v[95:96]
	v_mov_b32_e32 v40, s14
	v_mad_u64_u32 v[45:46], s[20:21], v44, s23, v[40:41]
	ds_write_b128 v198, v[59:62]
	ds_write_b128 v198, v[75:78] offset:16
	ds_write_b128 v198, v[67:70] offset:32
	;; [unrolled: 1-line block ×4, first 2 shown]
	s_waitcnt lgkmcnt(0)
	s_barrier
	global_load_dwordx4 v[144:147], v[45:46], off
	global_load_dwordx4 v[136:139], v[45:46], off offset:16
	global_load_dwordx4 v[132:135], v[45:46], off offset:32
	;; [unrolled: 1-line block ×8, first 2 shown]
	ds_read_b128 v[45:48], v193 offset:2400
	ds_read_b128 v[49:52], v193 offset:4800
	ds_read_b128 v[53:56], v193
	ds_read_b128 v[57:60], v193 offset:7200
	ds_read_b128 v[61:64], v193 offset:9600
	;; [unrolled: 1-line block ×3, first 2 shown]
	s_mov_b32 s20, 0x9b97f4a8
	s_mov_b32 s21, 0x3fe9e377
	v_mul_u32_u24_e32 v43, 50, v43
	v_add_lshl_u32 v196, v43, v44, 4
	v_mov_b32_e32 v43, 41
	v_mul_lo_u16_sdwa v43, v194, v43 dst_sel:DWORD dst_unused:UNUSED_PAD src0_sel:BYTE_0 src1_sel:DWORD
	v_lshrrev_b16_e32 v43, 11, v43
	v_mul_lo_u16_e32 v44, 50, v43
	v_sub_u16_e32 v44, v194, v44
	v_and_b32_e32 v44, 0xff, v44
	v_mad_u64_u32 v[40:41], s[24:25], v44, s23, v[40:41]
	s_waitcnt vmcnt(8) lgkmcnt(5)
	v_mul_f64 v[69:70], v[47:48], v[146:147]
	s_waitcnt vmcnt(7) lgkmcnt(4)
	v_mul_f64 v[73:74], v[51:52], v[138:139]
	v_mul_f64 v[71:72], v[45:46], v[146:147]
	;; [unrolled: 1-line block ×3, first 2 shown]
	s_waitcnt vmcnt(6) lgkmcnt(2)
	v_mul_f64 v[77:78], v[59:60], v[134:135]
	s_waitcnt vmcnt(5) lgkmcnt(1)
	v_mul_f64 v[79:80], v[61:62], v[126:127]
	;; [unrolled: 2-line block ×3, first 2 shown]
	v_mul_f64 v[85:86], v[65:66], v[150:151]
	v_fma_f64 v[69:70], v[45:46], v[144:145], -v[69:70]
	v_mul_f64 v[45:46], v[57:58], v[134:135]
	v_fma_f64 v[73:74], v[49:50], v[136:137], -v[73:74]
	v_mul_f64 v[49:50], v[63:64], v[126:127]
	v_fma_f64 v[71:72], v[47:48], v[144:145], v[71:72]
	v_fma_f64 v[75:76], v[51:52], v[136:137], v[75:76]
	v_fma_f64 v[77:78], v[57:58], v[132:133], -v[77:78]
	v_fma_f64 v[79:80], v[63:64], v[124:125], v[79:80]
	v_fma_f64 v[65:66], v[65:66], v[148:149], -v[81:82]
	v_fma_f64 v[83:84], v[59:60], v[132:133], v[45:46]
	ds_read_b128 v[45:48], v193 offset:14400
	v_fma_f64 v[87:88], v[61:62], v[124:125], -v[49:50]
	ds_read_b128 v[49:52], v193 offset:16800
	ds_read_b128 v[57:60], v193 offset:19200
	;; [unrolled: 1-line block ×3, first 2 shown]
	s_waitcnt vmcnt(3) lgkmcnt(3)
	v_mul_f64 v[89:90], v[47:48], v[130:131]
	v_mul_f64 v[91:92], v[45:46], v[130:131]
	s_waitcnt vmcnt(2) lgkmcnt(2)
	v_mul_f64 v[93:94], v[51:52], v[122:123]
	v_mul_f64 v[95:96], v[49:50], v[122:123]
	;; [unrolled: 3-line block ×3, first 2 shown]
	v_fma_f64 v[67:68], v[67:68], v[148:149], v[85:86]
	s_waitcnt lgkmcnt(0)
	v_fma_f64 v[81:82], v[45:46], v[128:129], -v[89:90]
	v_fma_f64 v[85:86], v[47:48], v[128:129], v[91:92]
	v_fma_f64 v[89:90], v[49:50], v[120:121], -v[93:94]
	v_fma_f64 v[91:92], v[51:52], v[120:121], v[95:96]
	v_fma_f64 v[59:60], v[59:60], v[116:117], v[99:100]
	v_add_f64 v[45:46], v[53:54], v[73:74]
	v_add_f64 v[47:48], v[55:56], v[75:76]
	;; [unrolled: 1-line block ×3, first 2 shown]
	s_waitcnt vmcnt(0)
	v_mul_f64 v[51:52], v[63:64], v[142:143]
	v_add_f64 v[99:100], v[71:72], v[83:84]
	v_fma_f64 v[57:58], v[57:58], v[116:117], -v[97:98]
	v_mul_f64 v[93:94], v[61:62], v[142:143]
	v_add_f64 v[95:96], v[87:88], v[81:82]
	v_add_f64 v[45:46], v[45:46], v[87:88]
	;; [unrolled: 1-line block ×4, first 2 shown]
	v_fma_f64 v[61:62], v[61:62], v[140:141], -v[51:52]
	v_add_f64 v[51:52], v[99:100], v[67:68]
	v_add_f64 v[97:98], v[73:74], v[57:58]
	v_fma_f64 v[63:64], v[63:64], v[140:141], v[93:94]
	v_fma_f64 v[93:94], v[95:96], -0.5, v[53:54]
	v_add_f64 v[45:46], v[45:46], v[81:82]
	v_add_f64 v[47:48], v[47:48], v[85:86]
	;; [unrolled: 1-line block ×5, first 2 shown]
	v_fma_f64 v[95:96], v[97:98], -0.5, v[53:54]
	v_add_f64 v[53:54], v[67:68], v[91:92]
	v_add_f64 v[109:110], v[77:78], -v[61:62]
	v_add_f64 v[103:104], v[45:46], v[57:58]
	v_add_f64 v[105:106], v[47:48], v[59:60]
	v_add_f64 v[49:50], v[49:50], v[61:62]
	v_fma_f64 v[99:100], v[99:100], -0.5, v[69:70]
	v_add_f64 v[51:52], v[51:52], v[63:64]
	v_add_f64 v[111:112], v[83:84], -v[63:64]
	v_fma_f64 v[107:108], v[53:54], -0.5, v[71:72]
	v_add_f64 v[97:98], v[79:80], v[85:86]
	v_add_f64 v[101:102], v[75:76], v[59:60]
	v_add_f64 v[53:54], v[77:78], -v[65:66]
	v_add_f64 v[45:46], v[103:104], v[49:50]
	v_add_f64 v[49:50], v[103:104], -v[49:50]
	;; [unrolled: 2-line block ×3, first 2 shown]
	v_add_f64 v[103:104], v[83:84], v[63:64]
	v_add_f64 v[105:106], v[77:78], v[61:62]
	v_add_f64 v[113:114], v[61:62], -v[89:90]
	v_add_f64 v[152:153], v[83:84], -v[67:68]
	;; [unrolled: 1-line block ×3, first 2 shown]
	v_fma_f64 v[156:157], v[109:110], s[18:19], v[107:108]
	v_add_f64 v[158:159], v[65:66], -v[89:90]
	v_fma_f64 v[160:161], v[111:112], s[0:1], v[99:100]
	v_add_f64 v[162:163], v[67:68], -v[91:92]
	v_fma_f64 v[71:72], v[103:104], -0.5, v[71:72]
	v_fma_f64 v[69:70], v[105:106], -0.5, v[69:70]
	;; [unrolled: 1-line block ×4, first 2 shown]
	v_add_f64 v[113:114], v[53:54], v[113:114]
	v_add_f64 v[152:153], v[152:153], v[154:155]
	v_fma_f64 v[53:54], v[158:159], s[16:17], v[156:157]
	v_fma_f64 v[55:56], v[162:163], s[2:3], v[160:161]
	v_add_f64 v[65:66], v[65:66], -v[77:78]
	v_add_f64 v[61:62], v[89:90], -v[61:62]
	;; [unrolled: 1-line block ×4, first 2 shown]
	v_fma_f64 v[77:78], v[158:159], s[0:1], v[71:72]
	v_fma_f64 v[83:84], v[162:163], s[18:19], v[69:70]
	v_add_f64 v[154:155], v[73:74], -v[87:88]
	v_add_f64 v[156:157], v[57:58], -v[81:82]
	;; [unrolled: 1-line block ×4, first 2 shown]
	v_fma_f64 v[53:54], v[152:153], s[6:7], v[53:54]
	v_fma_f64 v[55:56], v[113:114], s[6:7], v[55:56]
	v_add_f64 v[103:104], v[75:76], -v[59:60]
	v_add_f64 v[105:106], v[73:74], -v[57:58]
	v_add_f64 v[65:66], v[65:66], v[61:62]
	v_add_f64 v[67:68], v[67:68], v[63:64]
	v_fma_f64 v[61:62], v[109:110], s[16:17], v[77:78]
	v_fma_f64 v[63:64], v[111:112], s[2:3], v[83:84]
	v_add_f64 v[154:155], v[154:155], v[156:157]
	v_add_f64 v[156:157], v[160:161], v[164:165]
	v_mul_f64 v[160:161], v[53:54], s[2:3]
	v_mul_f64 v[164:165], v[55:56], s[16:17]
	v_fma_f64 v[89:90], v[103:104], s[0:1], v[93:94]
	v_add_f64 v[91:92], v[79:80], -v[85:86]
	v_fma_f64 v[166:167], v[105:106], s[18:19], v[97:98]
	v_add_f64 v[168:169], v[87:88], -v[81:82]
	v_fma_f64 v[61:62], v[67:68], s[6:7], v[61:62]
	v_fma_f64 v[63:64], v[65:66], s[6:7], v[63:64]
	;; [unrolled: 1-line block ×4, first 2 shown]
	v_add_f64 v[73:74], v[87:88], -v[73:74]
	v_fma_f64 v[53:54], v[91:92], s[2:3], v[89:90]
	v_add_f64 v[57:58], v[81:82], -v[57:58]
	v_fma_f64 v[55:56], v[168:169], s[16:17], v[166:167]
	v_add_f64 v[75:76], v[79:80], -v[75:76]
	v_add_f64 v[59:60], v[85:86], -v[59:60]
	v_fma_f64 v[79:80], v[91:92], s[18:19], v[95:96]
	v_fma_f64 v[81:82], v[168:169], s[0:1], v[101:102]
	v_mul_f64 v[89:90], v[61:62], s[0:1]
	v_mul_f64 v[160:161], v[63:64], s[18:19]
	v_fma_f64 v[85:86], v[154:155], s[6:7], v[53:54]
	v_fma_f64 v[87:88], v[156:157], s[6:7], v[55:56]
	v_add_f64 v[73:74], v[73:74], v[57:58]
	v_add_f64 v[75:76], v[75:76], v[59:60]
	v_fma_f64 v[57:58], v[103:104], s[2:3], v[79:80]
	v_fma_f64 v[59:60], v[105:106], s[16:17], v[81:82]
	;; [unrolled: 1-line block ×8, first 2 shown]
	v_add_f64 v[53:54], v[85:86], v[77:78]
	v_add_f64 v[55:56], v[87:88], v[83:84]
	v_fma_f64 v[69:70], v[73:74], s[6:7], v[57:58]
	v_fma_f64 v[71:72], v[75:76], s[6:7], v[59:60]
	v_add_f64 v[57:58], v[85:86], -v[77:78]
	v_add_f64 v[59:60], v[87:88], -v[83:84]
	v_fma_f64 v[77:78], v[111:112], s[16:17], v[61:62]
	v_fma_f64 v[83:84], v[109:110], s[2:3], v[63:64]
	;; [unrolled: 1-line block ×6, first 2 shown]
	v_add_f64 v[61:62], v[69:70], v[79:80]
	v_add_f64 v[63:64], v[71:72], v[81:82]
	v_fma_f64 v[65:66], v[65:66], s[6:7], v[77:78]
	v_fma_f64 v[67:68], v[67:68], s[6:7], v[83:84]
	;; [unrolled: 1-line block ×8, first 2 shown]
	v_mul_f64 v[95:96], v[65:66], s[6:7]
	v_mul_f64 v[97:98], v[67:68], s[6:7]
	v_fma_f64 v[77:78], v[91:92], s[16:17], v[77:78]
	v_fma_f64 v[83:84], v[168:169], s[2:3], v[83:84]
	v_mul_f64 v[91:92], v[85:86], s[20:21]
	v_mul_f64 v[99:100], v[87:88], s[20:21]
	v_fma_f64 v[73:74], v[73:74], s[6:7], v[89:90]
	v_fma_f64 v[75:76], v[75:76], s[6:7], v[93:94]
	v_fma_f64 v[89:90], v[67:68], s[0:1], -v[95:96]
	v_fma_f64 v[93:94], v[65:66], s[18:19], -v[97:98]
	v_fma_f64 v[95:96], v[154:155], s[6:7], v[77:78]
	v_fma_f64 v[83:84], v[156:157], s[6:7], v[83:84]
	v_fma_f64 v[87:88], v[87:88], s[2:3], -v[91:92]
	v_fma_f64 v[85:86], v[85:86], s[16:17], -v[99:100]
	v_add_f64 v[65:66], v[69:70], -v[79:80]
	v_add_f64 v[67:68], v[71:72], -v[81:82]
	v_add_f64 v[69:70], v[73:74], v[89:90]
	v_add_f64 v[71:72], v[75:76], v[93:94]
	v_add_f64 v[73:74], v[73:74], -v[89:90]
	v_add_f64 v[75:76], v[75:76], -v[93:94]
	v_add_f64 v[77:78], v[95:96], v[87:88]
	v_add_f64 v[79:80], v[83:84], v[85:86]
	v_add_f64 v[81:82], v[95:96], -v[87:88]
	v_add_f64 v[83:84], v[83:84], -v[85:86]
	s_barrier
	ds_write_b128 v196, v[45:48]
	ds_write_b128 v196, v[53:56] offset:80
	ds_write_b128 v196, v[61:64] offset:160
	;; [unrolled: 1-line block ×9, first 2 shown]
	s_waitcnt lgkmcnt(0)
	s_barrier
	global_load_dwordx4 v[100:103], v[40:41], off offset:720
	global_load_dwordx4 v[84:87], v[40:41], off offset:736
	;; [unrolled: 1-line block ×9, first 2 shown]
	ds_read_b128 v[45:48], v193 offset:2400
	ds_read_b128 v[49:52], v193 offset:4800
	ds_read_b128 v[53:56], v193
	ds_read_b128 v[57:60], v193 offset:7200
	ds_read_b128 v[61:64], v193 offset:9600
	;; [unrolled: 1-line block ×3, first 2 shown]
	s_waitcnt vmcnt(8) lgkmcnt(5)
	v_mul_f64 v[40:41], v[47:48], v[102:103]
	v_mul_f64 v[69:70], v[45:46], v[102:103]
	s_waitcnt vmcnt(7) lgkmcnt(4)
	v_mul_f64 v[71:72], v[51:52], v[86:87]
	v_mul_f64 v[73:74], v[49:50], v[86:87]
	;; [unrolled: 3-line block ×4, first 2 shown]
	v_fma_f64 v[40:41], v[45:46], v[100:101], -v[40:41]
	v_fma_f64 v[69:70], v[47:48], v[100:101], v[69:70]
	ds_read_b128 v[45:48], v193 offset:14400
	v_fma_f64 v[71:72], v[49:50], v[84:85], -v[71:72]
	v_fma_f64 v[73:74], v[51:52], v[84:85], v[73:74]
	v_fma_f64 v[75:76], v[57:58], v[80:81], -v[75:76]
	v_fma_f64 v[77:78], v[59:60], v[80:81], v[77:78]
	ds_read_b128 v[49:52], v193 offset:19200
	ds_read_b128 v[57:60], v193 offset:16800
	s_waitcnt vmcnt(4) lgkmcnt(3)
	v_mul_f64 v[156:157], v[67:68], v[114:115]
	s_waitcnt vmcnt(3) lgkmcnt(2)
	v_mul_f64 v[160:161], v[47:48], v[98:99]
	v_fma_f64 v[152:153], v[61:62], v[104:105], -v[152:153]
	s_waitcnt vmcnt(2) lgkmcnt(1)
	v_mul_f64 v[164:165], v[51:52], v[90:91]
	v_mul_f64 v[158:159], v[65:66], v[114:115]
	;; [unrolled: 1-line block ×3, first 2 shown]
	s_waitcnt vmcnt(1) lgkmcnt(0)
	v_mul_f64 v[166:167], v[59:60], v[110:111]
	v_mul_f64 v[168:169], v[57:58], v[110:111]
	;; [unrolled: 1-line block ×3, first 2 shown]
	v_fma_f64 v[65:66], v[65:66], v[112:113], -v[156:157]
	v_fma_f64 v[156:157], v[45:46], v[96:97], -v[160:161]
	;; [unrolled: 1-line block ×3, first 2 shown]
	v_fma_f64 v[154:155], v[63:64], v[104:105], v[154:155]
	ds_read_b128 v[61:64], v193 offset:21600
	v_fma_f64 v[67:68], v[67:68], v[112:113], v[158:159]
	v_fma_f64 v[158:159], v[47:48], v[96:97], v[162:163]
	v_fma_f64 v[57:58], v[57:58], v[108:109], -v[166:167]
	v_fma_f64 v[59:60], v[59:60], v[108:109], v[168:169]
	v_fma_f64 v[162:163], v[51:52], v[88:89], v[170:171]
	v_add_f64 v[45:46], v[53:54], v[71:72]
	s_waitcnt vmcnt(0) lgkmcnt(0)
	v_mul_f64 v[47:48], v[63:64], v[94:95]
	v_mul_f64 v[49:50], v[61:62], v[94:95]
	v_add_f64 v[51:52], v[152:153], v[156:157]
	v_add_f64 v[164:165], v[71:72], v[160:161]
	;; [unrolled: 1-line block ×6, first 2 shown]
	v_fma_f64 v[61:62], v[61:62], v[92:93], -v[47:48]
	v_fma_f64 v[63:64], v[63:64], v[92:93], v[49:50]
	v_fma_f64 v[172:173], v[51:52], -0.5, v[53:54]
	v_fma_f64 v[164:165], v[164:165], -0.5, v[53:54]
	v_add_f64 v[47:48], v[166:167], v[154:155]
	v_add_f64 v[49:50], v[168:169], v[65:66]
	;; [unrolled: 1-line block ×6, first 2 shown]
	v_add_f64 v[178:179], v[75:76], -v[61:62]
	v_add_f64 v[180:181], v[77:78], -v[63:64]
	v_add_f64 v[47:48], v[47:48], v[158:159]
	v_add_f64 v[207:208], v[77:78], v[63:64]
	v_fma_f64 v[176:177], v[53:54], -0.5, v[69:70]
	v_fma_f64 v[168:169], v[168:169], -0.5, v[40:41]
	v_add_f64 v[209:210], v[75:76], v[61:62]
	v_add_f64 v[166:167], v[154:155], v[158:159]
	;; [unrolled: 1-line block ×7, first 2 shown]
	v_add_f64 v[45:46], v[75:76], -v[65:66]
	v_add_f64 v[47:48], v[61:62], -v[57:58]
	;; [unrolled: 1-line block ×4, first 2 shown]
	v_fma_f64 v[186:187], v[178:179], s[18:19], v[176:177]
	v_add_f64 v[188:189], v[65:66], -v[57:58]
	v_fma_f64 v[190:191], v[180:181], s[0:1], v[168:169]
	v_add_f64 v[199:200], v[67:68], -v[59:60]
	v_fma_f64 v[69:70], v[207:208], -0.5, v[69:70]
	v_fma_f64 v[40:41], v[209:210], -0.5, v[40:41]
	v_add_f64 v[49:50], v[49:50], v[61:62]
	v_add_f64 v[51:52], v[51:52], v[63:64]
	v_fma_f64 v[166:167], v[166:167], -0.5, v[55:56]
	v_fma_f64 v[170:171], v[170:171], -0.5, v[55:56]
	v_add_f64 v[201:202], v[45:46], v[47:48]
	v_add_f64 v[182:183], v[182:183], v[184:185]
	v_fma_f64 v[55:56], v[188:189], s[16:17], v[186:187]
	v_fma_f64 v[184:185], v[199:200], s[2:3], v[190:191]
	v_add_f64 v[186:187], v[71:72], -v[152:153]
	v_add_f64 v[190:191], v[160:161], -v[156:157]
	;; [unrolled: 1-line block ×8, first 2 shown]
	v_fma_f64 v[63:64], v[188:189], s[0:1], v[69:70]
	v_fma_f64 v[67:68], v[199:200], s[18:19], v[40:41]
	v_add_f64 v[45:46], v[174:175], v[49:50]
	v_fma_f64 v[55:56], v[182:183], s[6:7], v[55:56]
	v_fma_f64 v[184:185], v[201:202], s[6:7], v[184:185]
	v_add_f64 v[49:50], v[174:175], -v[49:50]
	v_add_f64 v[174:175], v[186:187], v[190:191]
	v_add_f64 v[186:187], v[203:204], v[205:206]
	v_add_f64 v[203:204], v[73:74], -v[162:163]
	v_add_f64 v[205:206], v[71:72], -v[160:161]
	v_add_f64 v[65:66], v[65:66], v[57:58]
	v_add_f64 v[211:212], v[61:62], v[59:60]
	v_fma_f64 v[57:58], v[178:179], s[16:17], v[63:64]
	v_fma_f64 v[59:60], v[180:181], s[2:3], v[67:68]
	v_add_f64 v[47:48], v[53:54], v[51:52]
	v_add_f64 v[51:52], v[53:54], -v[51:52]
	v_mul_f64 v[53:54], v[55:56], s[2:3]
	v_mul_f64 v[190:191], v[184:185], s[16:17]
	v_fma_f64 v[75:76], v[203:204], s[0:1], v[172:173]
	v_add_f64 v[77:78], v[154:155], -v[158:159]
	v_fma_f64 v[207:208], v[205:206], s[18:19], v[166:167]
	v_add_f64 v[209:210], v[152:153], -v[156:157]
	v_fma_f64 v[57:58], v[211:212], s[6:7], v[57:58]
	v_fma_f64 v[59:60], v[65:66], s[6:7], v[59:60]
	;; [unrolled: 1-line block ×4, first 2 shown]
	v_add_f64 v[67:68], v[152:153], -v[71:72]
	v_fma_f64 v[53:54], v[77:78], s[2:3], v[75:76]
	v_add_f64 v[71:72], v[156:157], -v[160:161]
	v_fma_f64 v[55:56], v[209:210], s[16:17], v[207:208]
	v_add_f64 v[73:74], v[154:155], -v[73:74]
	v_add_f64 v[75:76], v[158:159], -v[162:163]
	v_fma_f64 v[152:153], v[77:78], s[18:19], v[164:165]
	v_fma_f64 v[154:155], v[209:210], s[0:1], v[170:171]
	v_mul_f64 v[160:161], v[57:58], s[0:1]
	v_mul_f64 v[162:163], v[59:60], s[18:19]
	v_fma_f64 v[156:157], v[174:175], s[6:7], v[53:54]
	v_fma_f64 v[158:159], v[186:187], s[6:7], v[55:56]
	v_add_f64 v[67:68], v[67:68], v[71:72]
	v_add_f64 v[71:72], v[73:74], v[75:76]
	v_fma_f64 v[73:74], v[203:204], s[2:3], v[152:153]
	v_fma_f64 v[75:76], v[205:206], s[16:17], v[154:155]
	;; [unrolled: 1-line block ×8, first 2 shown]
	v_add_f64 v[53:54], v[156:157], v[61:62]
	v_add_f64 v[55:56], v[158:159], v[63:64]
	v_add_f64 v[57:58], v[156:157], -v[61:62]
	v_add_f64 v[59:60], v[158:159], -v[63:64]
	v_fma_f64 v[40:41], v[180:181], s[16:17], v[40:41]
	v_fma_f64 v[69:70], v[178:179], s[2:3], v[69:70]
	;; [unrolled: 1-line block ×16, first 2 shown]
	v_mul_f64 v[166:167], v[40:41], s[6:7]
	v_mul_f64 v[168:169], v[65:66], s[6:7]
	v_fma_f64 v[69:70], v[77:78], s[16:17], v[69:70]
	v_fma_f64 v[77:78], v[209:210], s[2:3], v[164:165]
	v_mul_f64 v[164:165], v[156:157], s[20:21]
	v_mul_f64 v[170:171], v[158:159], s[20:21]
	v_fma_f64 v[160:161], v[67:68], s[6:7], v[160:161]
	v_fma_f64 v[162:163], v[71:72], s[6:7], v[162:163]
	v_fma_f64 v[166:167], v[65:66], s[0:1], -v[166:167]
	v_fma_f64 v[40:41], v[40:41], s[18:19], -v[168:169]
	v_fma_f64 v[168:169], v[174:175], s[6:7], v[69:70]
	v_fma_f64 v[77:78], v[186:187], s[6:7], v[77:78]
	v_fma_f64 v[164:165], v[158:159], s[2:3], -v[164:165]
	v_fma_f64 v[170:171], v[156:157], s[16:17], -v[170:171]
	v_add_f64 v[61:62], v[73:74], v[152:153]
	v_add_f64 v[63:64], v[75:76], v[154:155]
	v_add_f64 v[65:66], v[73:74], -v[152:153]
	v_add_f64 v[67:68], v[75:76], -v[154:155]
	v_add_f64 v[69:70], v[160:161], v[166:167]
	v_add_f64 v[71:72], v[162:163], v[40:41]
	v_add_f64 v[152:153], v[168:169], -v[164:165]
	v_add_f64 v[154:155], v[77:78], -v[170:171]
	v_add_f64 v[156:157], v[168:169], v[164:165]
	v_add_f64 v[158:159], v[77:78], v[170:171]
	v_add_f64 v[75:76], v[162:163], -v[40:41]
	v_mul_u32_u24_e32 v40, 0x1f4, v43
	v_add_f64 v[73:74], v[160:161], -v[166:167]
	v_add_lshl_u32 v195, v40, v44, 4
	s_barrier
	ds_write_b128 v195, v[45:48]
	ds_write_b128 v195, v[53:56] offset:800
	ds_write_b128 v195, v[61:64] offset:1600
	;; [unrolled: 1-line block ×9, first 2 shown]
	s_waitcnt lgkmcnt(0)
	s_barrier
	ds_read_b128 v[156:159], v193
	ds_read_b128 v[76:79], v193 offset:2400
	ds_read_b128 v[176:179], v193 offset:16000
	;; [unrolled: 1-line block ×8, first 2 shown]
	s_load_dwordx2 s[2:3], s[4:5], 0x38
	v_cmp_gt_u16_e64 s[0:1], 50, v194
                                        ; implicit-def: $vgpr172_vgpr173
                                        ; implicit-def: $vgpr188_vgpr189
	s_and_saveexec_b64 s[4:5], s[0:1]
	s_cbranch_execz .LBB0_3
; %bb.2:
	ds_read_b128 v[152:155], v193 offset:7200
	ds_read_b128 v[172:175], v193 offset:15200
	;; [unrolled: 1-line block ×3, first 2 shown]
.LBB0_3:
	s_or_b64 exec, exec, s[4:5]
	v_lshlrev_b32_e32 v45, 5, v194
	v_add_co_u32_e32 v46, vcc, 0x1c2, v194
	v_addc_co_u32_e64 v47, s[4:5], 0, 0, vcc
	v_mov_b32_e32 v199, s15
	v_add_co_u32_e32 v43, vcc, s14, v45
	v_addc_co_u32_e32 v44, vcc, 0, v199, vcc
	s_movk_i32 s6, 0x1ef0
	v_add_co_u32_e32 v40, vcc, s6, v43
	v_addc_co_u32_e32 v41, vcc, 0, v44, vcc
	v_add_co_u32_e32 v43, vcc, s22, v43
	v_addc_co_u32_e32 v44, vcc, 0, v44, vcc
	global_load_dwordx4 v[48:51], v[43:44], off offset:3824
	global_load_dwordx4 v[52:55], v[40:41], off offset:16
	v_lshlrev_b32_e32 v40, 5, v42
	v_add_co_u32_e32 v42, vcc, s14, v40
	v_addc_co_u32_e32 v43, vcc, 0, v199, vcc
	v_add_co_u32_e32 v40, vcc, s6, v42
	v_addc_co_u32_e32 v41, vcc, 0, v43, vcc
	;; [unrolled: 2-line block ×3, first 2 shown]
	global_load_dwordx4 v[56:59], v[42:43], off offset:3824
	global_load_dwordx4 v[60:63], v[40:41], off offset:16
	v_add_u32_e32 v40, 0x2580, v45
	v_add_co_u32_e32 v42, vcc, s14, v40
	v_addc_co_u32_e32 v43, vcc, 0, v199, vcc
	v_add_co_u32_e32 v40, vcc, s6, v42
	v_addc_co_u32_e32 v41, vcc, 0, v43, vcc
	;; [unrolled: 2-line block ×3, first 2 shown]
	s_movk_i32 s4, 0xffce
	global_load_dwordx4 v[68:71], v[42:43], off offset:3824
	global_load_dwordx4 v[64:67], v[40:41], off offset:16
	v_add_co_u32_e32 v40, vcc, s4, v194
	v_addc_co_u32_e64 v41, s[4:5], 0, -1, vcc
	v_cndmask_b32_e64 v41, v41, v47, s[0:1]
	v_cndmask_b32_e64 v40, v40, v46, s[0:1]
	v_lshlrev_b64 v[40:41], 5, v[40:41]
	s_mov_b32 s4, 0xe8584caa
	v_add_co_u32_e32 v44, vcc, s14, v40
	v_addc_co_u32_e32 v45, vcc, v199, v41, vcc
	v_add_co_u32_e32 v40, vcc, s22, v44
	v_addc_co_u32_e32 v41, vcc, 0, v45, vcc
	global_load_dwordx4 v[40:43], v[40:41], off offset:3824
	v_add_co_u32_e32 v44, vcc, s6, v44
	v_addc_co_u32_e32 v45, vcc, 0, v45, vcc
	global_load_dwordx4 v[44:47], v[44:45], off offset:16
	s_mov_b32 s5, 0x3febb67a
	s_mov_b32 s7, 0xbfebb67a
	;; [unrolled: 1-line block ×3, first 2 shown]
	s_waitcnt vmcnt(7) lgkmcnt(0)
	v_mul_f64 v[199:200], v[186:187], v[50:51]
	s_waitcnt vmcnt(6)
	v_mul_f64 v[203:204], v[178:179], v[54:55]
	v_mul_f64 v[201:202], v[184:185], v[50:51]
	;; [unrolled: 1-line block ×3, first 2 shown]
	v_fma_f64 v[184:185], v[184:185], v[48:49], -v[199:200]
	v_fma_f64 v[176:177], v[176:177], v[52:53], -v[203:204]
	v_fma_f64 v[186:187], v[186:187], v[48:49], v[201:202]
	v_fma_f64 v[178:179], v[178:179], v[52:53], v[205:206]
	s_waitcnt vmcnt(5)
	v_mul_f64 v[207:208], v[182:183], v[58:59]
	v_mul_f64 v[209:210], v[180:181], v[58:59]
	s_waitcnt vmcnt(4)
	v_mul_f64 v[211:212], v[166:167], v[62:63]
	v_mul_f64 v[213:214], v[164:165], v[62:63]
	v_add_f64 v[201:202], v[184:185], v[176:177]
	v_fma_f64 v[180:181], v[180:181], v[56:57], -v[207:208]
	v_fma_f64 v[182:183], v[182:183], v[56:57], v[209:210]
	v_fma_f64 v[205:206], v[164:165], v[60:61], -v[211:212]
	v_fma_f64 v[207:208], v[166:167], v[60:61], v[213:214]
	v_add_f64 v[166:167], v[156:157], v[184:185]
	v_fma_f64 v[201:202], v[201:202], -0.5, v[156:157]
	s_waitcnt vmcnt(3)
	v_mul_f64 v[215:216], v[170:171], v[70:71]
	s_waitcnt vmcnt(2)
	v_mul_f64 v[219:220], v[162:163], v[66:67]
	v_mul_f64 v[217:218], v[168:169], v[70:71]
	;; [unrolled: 1-line block ×3, first 2 shown]
	v_add_f64 v[166:167], v[166:167], v[176:177]
	v_add_f64 v[176:177], v[184:185], -v[176:177]
	v_add_f64 v[184:185], v[182:183], v[207:208]
	v_fma_f64 v[209:210], v[168:169], v[68:69], -v[215:216]
	v_fma_f64 v[213:214], v[160:161], v[64:65], -v[219:220]
	v_add_f64 v[168:169], v[186:187], -v[178:179]
	v_fma_f64 v[211:212], v[170:171], v[68:69], v[217:218]
	v_fma_f64 v[215:216], v[162:163], v[64:65], v[221:222]
	s_waitcnt vmcnt(1)
	v_mul_f64 v[223:224], v[174:175], v[42:43]
	v_mul_f64 v[199:200], v[172:173], v[42:43]
	v_fma_f64 v[170:171], v[168:169], s[4:5], v[201:202]
	s_waitcnt vmcnt(0)
	v_mul_f64 v[203:204], v[190:191], v[46:47]
	v_mul_f64 v[225:226], v[188:189], v[46:47]
	v_fma_f64 v[156:157], v[172:173], v[40:41], -v[223:224]
	v_add_f64 v[172:173], v[186:187], v[178:179]
	v_add_f64 v[186:187], v[158:159], v[186:187]
	v_fma_f64 v[164:165], v[174:175], v[40:41], v[199:200]
	v_fma_f64 v[174:175], v[168:169], s[6:7], v[201:202]
	v_fma_f64 v[160:161], v[188:189], v[44:45], -v[203:204]
	v_add_f64 v[188:189], v[180:181], v[205:206]
	v_fma_f64 v[162:163], v[190:191], v[44:45], v[225:226]
	v_add_f64 v[190:191], v[76:77], v[180:181]
	v_fma_f64 v[158:159], v[172:173], -0.5, v[158:159]
	v_add_f64 v[199:200], v[78:79], v[182:183]
	v_fma_f64 v[78:79], v[184:185], -0.5, v[78:79]
	v_add_f64 v[201:202], v[180:181], -v[205:206]
	v_add_f64 v[168:169], v[186:187], v[178:179]
	v_fma_f64 v[76:77], v[188:189], -0.5, v[76:77]
	v_add_f64 v[188:189], v[182:183], -v[207:208]
	v_add_f64 v[178:179], v[190:191], v[205:206]
	v_fma_f64 v[172:173], v[176:177], s[6:7], v[158:159]
	v_fma_f64 v[176:177], v[176:177], s[4:5], v[158:159]
	v_add_f64 v[158:159], v[72:73], v[209:210]
	v_add_f64 v[180:181], v[199:200], v[207:208]
	v_fma_f64 v[184:185], v[201:202], s[6:7], v[78:79]
	v_add_f64 v[190:191], v[211:212], v[215:216]
	v_fma_f64 v[182:183], v[188:189], s[4:5], v[76:77]
	v_fma_f64 v[186:187], v[188:189], s[6:7], v[76:77]
	v_add_f64 v[76:77], v[209:210], v[213:214]
	v_fma_f64 v[188:189], v[201:202], s[4:5], v[78:79]
	v_add_f64 v[78:79], v[156:157], v[160:161]
	v_add_f64 v[199:200], v[158:159], v[213:214]
	;; [unrolled: 1-line block ×4, first 2 shown]
	v_fma_f64 v[74:75], v[190:191], -0.5, v[74:75]
	v_add_f64 v[190:191], v[209:210], -v[213:214]
	v_fma_f64 v[72:73], v[76:77], -0.5, v[72:73]
	v_add_f64 v[76:77], v[211:212], -v[215:216]
	;; [unrolled: 2-line block ×4, first 2 shown]
	v_add_f64 v[201:202], v[201:202], v[215:216]
	v_fma_f64 v[205:206], v[190:191], s[6:7], v[74:75]
	v_fma_f64 v[209:210], v[190:191], s[4:5], v[74:75]
	;; [unrolled: 1-line block ×8, first 2 shown]
	ds_write_b128 v193, v[166:169]
	ds_write_b128 v193, v[170:173] offset:8000
	ds_write_b128 v193, v[174:177] offset:16000
	;; [unrolled: 1-line block ×8, first 2 shown]
	s_and_saveexec_b64 s[4:5], s[0:1]
	s_cbranch_execz .LBB0_5
; %bb.4:
	v_add_f64 v[154:155], v[154:155], v[164:165]
	v_add_f64 v[152:153], v[152:153], v[156:157]
	;; [unrolled: 1-line block ×4, first 2 shown]
	ds_write_b128 v193, v[72:75] offset:15200
	ds_write_b128 v193, v[152:155] offset:7200
	;; [unrolled: 1-line block ×3, first 2 shown]
.LBB0_5:
	s_or_b64 exec, exec, s[4:5]
	v_lshlrev_b32_e32 v152, 4, v194
	v_add_co_u32_e32 v172, vcc, s12, v152
	v_mov_b32_e32 v152, s13
	v_addc_co_u32_e32 v173, vcc, 0, v152, vcc
	s_movk_i32 s4, 0x5dc0
	v_add_co_u32_e32 v164, vcc, s4, v172
	v_addc_co_u32_e32 v165, vcc, 0, v173, vcc
	s_movk_i32 s4, 0x5000
	v_add_co_u32_e32 v156, vcc, s4, v172
	v_addc_co_u32_e32 v157, vcc, 0, v173, vcc
	s_waitcnt lgkmcnt(0)
	s_barrier
	global_load_dwordx4 v[156:159], v[156:157], off offset:3520
	ds_read_b128 v[152:155], v193
	s_movk_i32 s4, 0x7000
	v_add_co_u32_e32 v166, vcc, s4, v172
	v_addc_co_u32_e32 v167, vcc, 0, v173, vcc
	s_mov_b32 s4, 0x8000
	v_add_co_u32_e32 v168, vcc, s4, v172
	v_addc_co_u32_e32 v169, vcc, 0, v173, vcc
	s_mov_b32 s4, 0x9000
	;; [unrolled: 3-line block ×3, first 2 shown]
	s_mov_b32 s16, 0x134454ff
	s_mov_b32 s17, 0xbfee6f0e
	s_mov_b32 s7, 0x3fee6f0e
	s_mov_b32 s6, s16
	s_mov_b32 s14, 0x4755a5e
	s_mov_b32 s15, 0xbfe2cf23
	s_mov_b32 s5, 0x3fe2cf23
	s_mov_b32 s12, 0x372fe950
	s_mov_b32 s13, 0x3fd3c6ef
	s_mov_b32 s18, 0x9b97f4a8
	s_mov_b32 s19, 0x3fe9e377
	s_mov_b32 s21, 0xbfd3c6ef
	s_mov_b32 s20, s12
	s_mov_b32 s23, 0xbfe9e377
	s_mov_b32 s22, s18
	s_waitcnt vmcnt(0) lgkmcnt(0)
	v_mul_f64 v[160:161], v[154:155], v[158:159]
	v_fma_f64 v[160:161], v[152:153], v[156:157], -v[160:161]
	v_mul_f64 v[152:153], v[152:153], v[158:159]
	v_fma_f64 v[162:163], v[154:155], v[156:157], v[152:153]
	global_load_dwordx4 v[156:159], v[166:167], off offset:128
	ds_read_b128 v[152:155], v193 offset:4800
	ds_write_b128 v193, v[160:163]
	s_waitcnt vmcnt(0) lgkmcnt(1)
	v_mul_f64 v[160:161], v[154:155], v[158:159]
	v_fma_f64 v[160:161], v[152:153], v[156:157], -v[160:161]
	v_mul_f64 v[152:153], v[152:153], v[158:159]
	v_fma_f64 v[162:163], v[154:155], v[156:157], v[152:153]
	global_load_dwordx4 v[156:159], v[168:169], off offset:832
	ds_read_b128 v[152:155], v193 offset:9600
	ds_write_b128 v193, v[160:163] offset:4800
	s_waitcnt vmcnt(0) lgkmcnt(1)
	v_mul_f64 v[160:161], v[154:155], v[158:159]
	v_fma_f64 v[160:161], v[152:153], v[156:157], -v[160:161]
	v_mul_f64 v[152:153], v[152:153], v[158:159]
	v_fma_f64 v[162:163], v[154:155], v[156:157], v[152:153]
	global_load_dwordx4 v[156:159], v[170:171], off offset:1536
	ds_read_b128 v[152:155], v193 offset:14400
	ds_write_b128 v193, v[160:163] offset:9600
	s_waitcnt vmcnt(0) lgkmcnt(1)
	v_mul_f64 v[160:161], v[154:155], v[158:159]
	v_fma_f64 v[160:161], v[152:153], v[156:157], -v[160:161]
	v_mul_f64 v[152:153], v[152:153], v[158:159]
	v_fma_f64 v[162:163], v[154:155], v[156:157], v[152:153]
	v_add_co_u32_e32 v156, vcc, s4, v172
	v_addc_co_u32_e32 v157, vcc, 0, v173, vcc
	global_load_dwordx4 v[156:159], v[156:157], off offset:2240
	ds_read_b128 v[152:155], v193 offset:19200
	s_mov_b32 s4, 0xb000
	ds_write_b128 v193, v[160:163] offset:14400
	s_waitcnt vmcnt(0) lgkmcnt(1)
	v_mul_f64 v[160:161], v[154:155], v[158:159]
	v_fma_f64 v[160:161], v[152:153], v[156:157], -v[160:161]
	v_mul_f64 v[152:153], v[152:153], v[158:159]
	v_fma_f64 v[162:163], v[154:155], v[156:157], v[152:153]
	global_load_dwordx4 v[156:159], v[164:165], off offset:2400
	ds_read_b128 v[152:155], v193 offset:2400
	ds_write_b128 v193, v[160:163] offset:19200
	s_waitcnt vmcnt(0) lgkmcnt(1)
	v_mul_f64 v[160:161], v[154:155], v[158:159]
	v_fma_f64 v[160:161], v[152:153], v[156:157], -v[160:161]
	v_mul_f64 v[152:153], v[152:153], v[158:159]
	v_fma_f64 v[162:163], v[154:155], v[156:157], v[152:153]
	global_load_dwordx4 v[156:159], v[166:167], off offset:2528
	ds_read_b128 v[152:155], v193 offset:7200
	ds_write_b128 v193, v[160:163] offset:2400
	s_waitcnt vmcnt(0) lgkmcnt(1)
	v_mul_f64 v[160:161], v[154:155], v[158:159]
	v_fma_f64 v[160:161], v[152:153], v[156:157], -v[160:161]
	v_mul_f64 v[152:153], v[152:153], v[158:159]
	v_fma_f64 v[162:163], v[154:155], v[156:157], v[152:153]
	global_load_dwordx4 v[156:159], v[168:169], off offset:3232
	ds_read_b128 v[152:155], v193 offset:12000
	ds_write_b128 v193, v[160:163] offset:7200
	s_waitcnt vmcnt(0) lgkmcnt(1)
	v_mul_f64 v[160:161], v[154:155], v[158:159]
	v_fma_f64 v[160:161], v[152:153], v[156:157], -v[160:161]
	v_mul_f64 v[152:153], v[152:153], v[158:159]
	v_fma_f64 v[162:163], v[154:155], v[156:157], v[152:153]
	global_load_dwordx4 v[156:159], v[170:171], off offset:3936
	ds_read_b128 v[152:155], v193 offset:16800
	ds_write_b128 v193, v[160:163] offset:12000
	s_waitcnt vmcnt(0) lgkmcnt(1)
	v_mul_f64 v[160:161], v[154:155], v[158:159]
	v_fma_f64 v[160:161], v[152:153], v[156:157], -v[160:161]
	v_mul_f64 v[152:153], v[152:153], v[158:159]
	v_fma_f64 v[162:163], v[154:155], v[156:157], v[152:153]
	v_add_co_u32_e32 v156, vcc, s4, v172
	v_addc_co_u32_e32 v157, vcc, 0, v173, vcc
	global_load_dwordx4 v[156:159], v[156:157], off offset:544
	ds_read_b128 v[152:155], v193 offset:21600
	s_mov_b32 s4, s14
	ds_write_b128 v193, v[160:163] offset:16800
	s_waitcnt vmcnt(0) lgkmcnt(1)
	v_mul_f64 v[160:161], v[154:155], v[158:159]
	v_fma_f64 v[160:161], v[152:153], v[156:157], -v[160:161]
	v_mul_f64 v[152:153], v[152:153], v[158:159]
	v_fma_f64 v[162:163], v[154:155], v[156:157], v[152:153]
	ds_write_b128 v193, v[160:163] offset:21600
	s_waitcnt lgkmcnt(0)
	s_barrier
	ds_read_b128 v[184:187], v193
	ds_read_b128 v[199:202], v193 offset:4800
	ds_read_b128 v[203:206], v193 offset:9600
	;; [unrolled: 1-line block ×9, first 2 shown]
	s_waitcnt lgkmcnt(6)
	v_add_f64 v[170:171], v[203:204], v[207:208]
	s_waitcnt lgkmcnt(5)
	v_add_f64 v[178:179], v[201:202], -v[213:214]
	v_add_f64 v[182:183], v[205:206], -v[209:210]
	;; [unrolled: 1-line block ×4, first 2 shown]
	v_add_f64 v[168:169], v[184:185], v[199:200]
	v_add_f64 v[190:191], v[207:208], -v[211:212]
	s_waitcnt lgkmcnt(0)
	v_fma_f64 v[170:171], v[170:171], -0.5, v[184:185]
	s_barrier
	v_add_f64 v[188:189], v[180:181], v[188:189]
	v_add_f64 v[168:169], v[168:169], v[203:204]
	v_fma_f64 v[176:177], v[178:179], s[16:17], v[170:171]
	v_fma_f64 v[170:171], v[178:179], s[6:7], v[170:171]
	v_add_f64 v[168:169], v[168:169], v[207:208]
	v_fma_f64 v[176:177], v[182:183], s[14:15], v[176:177]
	v_fma_f64 v[170:171], v[182:183], s[4:5], v[170:171]
	;; [unrolled: 3-line block ×3, first 2 shown]
	v_add_f64 v[170:171], v[199:200], v[211:212]
	v_add_f64 v[188:189], v[203:204], -v[199:200]
	v_add_f64 v[199:200], v[199:200], -v[211:212]
	;; [unrolled: 1-line block ×5, first 2 shown]
	v_fma_f64 v[170:171], v[170:171], -0.5, v[184:185]
	v_add_f64 v[190:191], v[188:189], v[190:191]
	v_fma_f64 v[184:185], v[182:183], s[6:7], v[170:171]
	v_fma_f64 v[170:171], v[182:183], s[16:17], v[170:171]
	;; [unrolled: 1-line block ×4, first 2 shown]
	v_add_f64 v[178:179], v[205:206], v[209:210]
	v_fma_f64 v[188:189], v[190:191], s[12:13], v[184:185]
	v_fma_f64 v[184:185], v[190:191], s[12:13], v[170:171]
	v_fma_f64 v[178:179], v[178:179], -0.5, v[186:187]
	v_add_f64 v[190:191], v[201:202], -v[205:206]
	v_add_f64 v[170:171], v[186:187], v[201:202]
	v_fma_f64 v[182:183], v[199:200], s[6:7], v[178:179]
	v_fma_f64 v[178:179], v[199:200], s[16:17], v[178:179]
	v_add_f64 v[190:191], v[190:191], v[207:208]
	v_add_f64 v[170:171], v[170:171], v[205:206]
	v_add_f64 v[207:208], v[152:153], -v[156:157]
	v_fma_f64 v[182:183], v[203:204], s[4:5], v[182:183]
	v_fma_f64 v[178:179], v[203:204], s[14:15], v[178:179]
	v_add_f64 v[170:171], v[170:171], v[209:210]
	v_add_f64 v[207:208], v[207:208], v[211:212]
	v_add_f64 v[211:212], v[156:157], -v[152:153]
	v_fma_f64 v[182:183], v[190:191], s[12:13], v[182:183]
	v_fma_f64 v[178:179], v[190:191], s[12:13], v[178:179]
	v_add_f64 v[190:191], v[201:202], v[213:214]
	v_add_f64 v[201:202], v[205:206], -v[201:202]
	v_add_f64 v[205:206], v[209:210], -v[213:214]
	;; [unrolled: 1-line block ×3, first 2 shown]
	v_add_f64 v[170:171], v[170:171], v[213:214]
	v_add_f64 v[213:214], v[160:161], -v[164:165]
	v_fma_f64 v[186:187], v[190:191], -0.5, v[186:187]
	v_add_f64 v[201:202], v[201:202], v[205:206]
	v_add_f64 v[205:206], v[154:155], -v[166:167]
	v_add_f64 v[211:212], v[211:212], v[213:214]
	v_fma_f64 v[190:191], v[203:204], s[16:17], v[186:187]
	v_fma_f64 v[186:187], v[203:204], s[6:7], v[186:187]
	;; [unrolled: 1-line block ×4, first 2 shown]
	v_add_f64 v[199:200], v[172:173], v[152:153]
	v_fma_f64 v[190:191], v[201:202], s[12:13], v[190:191]
	v_fma_f64 v[186:187], v[201:202], s[12:13], v[186:187]
	v_add_f64 v[201:202], v[156:157], v[160:161]
	v_add_f64 v[199:200], v[199:200], v[156:157]
	v_add_f64 v[156:157], v[156:157], -v[160:161]
	v_fma_f64 v[201:202], v[201:202], -0.5, v[172:173]
	v_add_f64 v[199:200], v[199:200], v[160:161]
	v_fma_f64 v[203:204], v[205:206], s[16:17], v[201:202]
	v_fma_f64 v[201:202], v[205:206], s[6:7], v[201:202]
	v_add_f64 v[199:200], v[199:200], v[164:165]
	v_fma_f64 v[203:204], v[209:210], s[14:15], v[203:204]
	v_fma_f64 v[201:202], v[209:210], s[4:5], v[201:202]
	;; [unrolled: 1-line block ×4, first 2 shown]
	v_add_f64 v[201:202], v[152:153], v[164:165]
	v_add_f64 v[152:153], v[152:153], -v[164:165]
	v_fma_f64 v[201:202], v[201:202], -0.5, v[172:173]
	v_fma_f64 v[172:173], v[209:210], s[6:7], v[201:202]
	v_fma_f64 v[201:202], v[209:210], s[16:17], v[201:202]
	;; [unrolled: 1-line block ×4, first 2 shown]
	v_add_f64 v[205:206], v[158:159], v[162:163]
	v_fma_f64 v[172:173], v[211:212], s[12:13], v[172:173]
	v_fma_f64 v[211:212], v[211:212], s[12:13], v[201:202]
	v_fma_f64 v[209:210], v[205:206], -0.5, v[174:175]
	v_add_f64 v[205:206], v[166:167], -v[162:163]
	v_add_f64 v[201:202], v[174:175], v[154:155]
	v_fma_f64 v[164:165], v[152:153], s[6:7], v[209:210]
	v_add_f64 v[201:202], v[201:202], v[158:159]
	v_fma_f64 v[160:161], v[156:157], s[4:5], v[164:165]
	v_add_f64 v[164:165], v[154:155], -v[158:159]
	v_add_f64 v[201:202], v[201:202], v[162:163]
	v_add_f64 v[164:165], v[164:165], v[205:206]
	;; [unrolled: 1-line block ×3, first 2 shown]
	v_fma_f64 v[205:206], v[164:165], s[12:13], v[160:161]
	v_fma_f64 v[160:161], v[152:153], s[16:17], v[209:210]
	;; [unrolled: 1-line block ×4, first 2 shown]
	v_add_f64 v[160:161], v[154:155], v[166:167]
	v_add_f64 v[154:155], v[158:159], -v[154:155]
	v_add_f64 v[158:159], v[162:163], -v[166:167]
	v_fma_f64 v[160:161], v[160:161], -0.5, v[174:175]
	v_add_f64 v[154:155], v[154:155], v[158:159]
	v_fma_f64 v[164:165], v[156:157], s[16:17], v[160:161]
	v_fma_f64 v[156:157], v[156:157], s[6:7], v[160:161]
	;; [unrolled: 1-line block ×6, first 2 shown]
	ds_write_b128 v197, v[168:171]
	ds_write_b128 v197, v[180:183] offset:16
	ds_write_b128 v197, v[188:191] offset:32
	;; [unrolled: 1-line block ×4, first 2 shown]
	ds_write_b128 v198, v[199:202]
	ds_write_b128 v198, v[203:206] offset:16
	ds_write_b128 v198, v[172:175] offset:32
	;; [unrolled: 1-line block ×4, first 2 shown]
	s_waitcnt lgkmcnt(0)
	s_barrier
	ds_read_b128 v[152:155], v193
	ds_read_b128 v[158:161], v193 offset:2400
	ds_read_b128 v[162:165], v193 offset:4800
	;; [unrolled: 1-line block ×9, first 2 shown]
	s_waitcnt lgkmcnt(8)
	v_mul_f64 v[156:157], v[146:147], v[160:161]
	v_mul_f64 v[146:147], v[146:147], v[158:159]
	s_waitcnt lgkmcnt(0)
	s_barrier
	v_fma_f64 v[156:157], v[144:145], v[158:159], v[156:157]
	v_fma_f64 v[144:145], v[144:145], v[160:161], -v[146:147]
	v_mul_f64 v[146:147], v[138:139], v[164:165]
	v_mul_f64 v[138:139], v[138:139], v[162:163]
	v_fma_f64 v[146:147], v[136:137], v[162:163], v[146:147]
	v_fma_f64 v[158:159], v[136:137], v[164:165], -v[138:139]
	v_mul_f64 v[136:137], v[134:135], v[168:169]
	v_mul_f64 v[134:135], v[134:135], v[166:167]
	;; [unrolled: 4-line block ×4, first 2 shown]
	v_fma_f64 v[138:139], v[148:149], v[174:175], v[124:125]
	v_mul_f64 v[124:125], v[150:151], v[174:175]
	v_fma_f64 v[124:125], v[148:149], v[176:177], -v[124:125]
	v_fma_f64 v[148:149], v[128:129], v[178:179], v[126:127]
	v_mul_f64 v[126:127], v[130:131], v[178:179]
	v_fma_f64 v[164:165], v[128:129], v[180:181], -v[126:127]
	v_mul_f64 v[126:127], v[122:123], v[184:185]
	v_mul_f64 v[122:123], v[122:123], v[182:183]
	v_add_f64 v[128:129], v[162:163], -v[164:165]
	v_fma_f64 v[150:151], v[120:121], v[182:183], v[126:127]
	v_fma_f64 v[130:131], v[120:121], v[184:185], -v[122:123]
	v_mul_f64 v[120:121], v[118:119], v[188:189]
	v_mul_f64 v[118:119], v[118:119], v[186:187]
	v_add_f64 v[126:127], v[146:147], -v[160:161]
	v_fma_f64 v[166:167], v[116:117], v[186:187], v[120:121]
	v_fma_f64 v[168:169], v[116:117], v[188:189], -v[118:119]
	v_mul_f64 v[116:117], v[142:143], v[199:200]
	v_add_f64 v[118:119], v[160:161], v[148:149]
	v_add_f64 v[122:123], v[158:159], -v[168:169]
	v_fma_f64 v[170:171], v[140:141], v[197:198], v[116:117]
	v_mul_f64 v[116:117], v[142:143], v[197:198]
	v_fma_f64 v[118:119], v[118:119], -0.5, v[152:153]
	v_add_f64 v[142:143], v[160:161], -v[146:147]
	v_fma_f64 v[134:135], v[140:141], v[199:200], -v[116:117]
	v_fma_f64 v[120:121], v[122:123], s[16:17], v[118:119]
	v_add_f64 v[140:141], v[166:167], -v[148:149]
	v_fma_f64 v[118:119], v[122:123], s[6:7], v[118:119]
	v_add_f64 v[116:117], v[152:153], v[146:147]
	v_fma_f64 v[120:121], v[128:129], s[14:15], v[120:121]
	v_add_f64 v[126:127], v[126:127], v[140:141]
	;; [unrolled: 2-line block ×3, first 2 shown]
	v_fma_f64 v[120:121], v[126:127], s[12:13], v[120:121]
	v_fma_f64 v[118:119], v[126:127], s[12:13], v[118:119]
	v_add_f64 v[126:127], v[146:147], v[166:167]
	v_add_f64 v[116:117], v[116:117], v[148:149]
	v_fma_f64 v[140:141], v[126:127], -0.5, v[152:153]
	v_add_f64 v[152:153], v[148:149], -v[166:167]
	v_add_f64 v[148:149], v[160:161], -v[148:149]
	;; [unrolled: 1-line block ×3, first 2 shown]
	v_add_f64 v[116:117], v[116:117], v[166:167]
	v_fma_f64 v[126:127], v[128:129], s[6:7], v[140:141]
	v_fma_f64 v[128:129], v[128:129], s[16:17], v[140:141]
	v_add_f64 v[142:143], v[142:143], v[152:153]
	v_add_f64 v[140:141], v[162:163], v[164:165]
	v_add_f64 v[152:153], v[146:147], -v[166:167]
	v_add_f64 v[146:147], v[158:159], -v[162:163]
	;; [unrolled: 1-line block ×3, first 2 shown]
	v_fma_f64 v[126:127], v[122:123], s[14:15], v[126:127]
	v_fma_f64 v[122:123], v[122:123], s[4:5], v[128:129]
	v_add_f64 v[146:147], v[146:147], v[160:161]
	v_add_f64 v[160:161], v[164:165], -v[168:169]
	v_fma_f64 v[126:127], v[142:143], s[12:13], v[126:127]
	v_fma_f64 v[128:129], v[142:143], s[12:13], v[122:123]
	v_fma_f64 v[142:143], v[140:141], -0.5, v[154:155]
	v_add_f64 v[122:123], v[154:155], v[158:159]
	v_fma_f64 v[140:141], v[152:153], s[6:7], v[142:143]
	v_fma_f64 v[142:143], v[152:153], s[16:17], v[142:143]
	v_add_f64 v[122:123], v[122:123], v[162:163]
	v_fma_f64 v[140:141], v[148:149], s[4:5], v[140:141]
	v_fma_f64 v[142:143], v[148:149], s[14:15], v[142:143]
	v_add_f64 v[122:123], v[122:123], v[164:165]
	v_add_f64 v[164:165], v[136:137], -v[138:139]
	v_fma_f64 v[140:141], v[146:147], s[12:13], v[140:141]
	v_fma_f64 v[142:143], v[146:147], s[12:13], v[142:143]
	v_add_f64 v[146:147], v[158:159], v[168:169]
	v_add_f64 v[158:159], v[162:163], -v[158:159]
	v_add_f64 v[162:163], v[124:125], -v[130:131]
	v_add_f64 v[164:165], v[164:165], v[166:167]
	v_add_f64 v[122:123], v[122:123], v[168:169]
	v_add_f64 v[166:167], v[138:139], -v[136:137]
	v_add_f64 v[168:169], v[150:151], -v[170:171]
	v_fma_f64 v[154:155], v[146:147], -0.5, v[154:155]
	v_add_f64 v[158:159], v[158:159], v[160:161]
	v_add_f64 v[166:167], v[166:167], v[168:169]
	v_fma_f64 v[146:147], v[148:149], s[16:17], v[154:155]
	v_fma_f64 v[148:149], v[148:149], s[6:7], v[154:155]
	v_add_f64 v[154:155], v[138:139], v[150:151]
	v_fma_f64 v[146:147], v[152:153], s[4:5], v[146:147]
	v_fma_f64 v[148:149], v[152:153], s[14:15], v[148:149]
	v_fma_f64 v[154:155], v[154:155], -0.5, v[156:157]
	v_add_f64 v[152:153], v[156:157], v[136:137]
	v_fma_f64 v[146:147], v[158:159], s[12:13], v[146:147]
	v_fma_f64 v[148:149], v[158:159], s[12:13], v[148:149]
	v_add_f64 v[158:159], v[132:133], -v[134:135]
	v_add_f64 v[152:153], v[152:153], v[138:139]
	v_add_f64 v[138:139], v[138:139], -v[150:151]
	v_fma_f64 v[160:161], v[158:159], s[16:17], v[154:155]
	v_fma_f64 v[154:155], v[158:159], s[6:7], v[154:155]
	v_add_f64 v[152:153], v[152:153], v[150:151]
	v_fma_f64 v[160:161], v[162:163], s[14:15], v[160:161]
	v_fma_f64 v[154:155], v[162:163], s[4:5], v[154:155]
	v_add_f64 v[152:153], v[152:153], v[170:171]
	;; [unrolled: 3-line block ×3, first 2 shown]
	v_add_f64 v[136:137], v[136:137], -v[170:171]
	v_fma_f64 v[154:155], v[154:155], -0.5, v[156:157]
	v_fma_f64 v[156:157], v[162:163], s[6:7], v[154:155]
	v_fma_f64 v[154:155], v[162:163], s[16:17], v[154:155]
	v_add_f64 v[162:163], v[134:135], -v[130:131]
	v_fma_f64 v[156:157], v[158:159], s[14:15], v[156:157]
	v_fma_f64 v[154:155], v[158:159], s[4:5], v[154:155]
	v_fma_f64 v[156:157], v[166:167], s[12:13], v[156:157]
	v_fma_f64 v[166:167], v[166:167], s[12:13], v[154:155]
	v_add_f64 v[154:155], v[144:145], v[132:133]
	v_add_f64 v[154:155], v[154:155], v[124:125]
	;; [unrolled: 1-line block ×5, first 2 shown]
	v_add_f64 v[130:131], v[130:131], -v[134:135]
	v_fma_f64 v[154:155], v[154:155], -0.5, v[144:145]
	v_fma_f64 v[158:159], v[136:137], s[6:7], v[154:155]
	v_fma_f64 v[154:155], v[136:137], s[16:17], v[154:155]
	;; [unrolled: 1-line block ×3, first 2 shown]
	v_add_f64 v[158:159], v[132:133], -v[124:125]
	v_fma_f64 v[154:155], v[138:139], s[14:15], v[154:155]
	v_add_f64 v[124:125], v[124:125], -v[132:133]
	v_add_f64 v[158:159], v[158:159], v[162:163]
	v_add_f64 v[124:125], v[124:125], v[130:131]
	v_fma_f64 v[170:171], v[158:159], s[12:13], v[154:155]
	v_add_f64 v[154:155], v[132:133], v[134:135]
	v_fma_f64 v[150:151], v[158:159], s[12:13], v[150:151]
	v_fma_f64 v[144:145], v[154:155], -0.5, v[144:145]
	v_mul_f64 v[132:133], v[150:151], s[14:15]
	v_fma_f64 v[154:155], v[138:139], s[16:17], v[144:145]
	v_fma_f64 v[130:131], v[138:139], s[6:7], v[144:145]
	;; [unrolled: 1-line block ×5, first 2 shown]
	v_mul_f64 v[136:137], v[150:151], s[18:19]
	v_add_f64 v[134:135], v[120:121], v[138:139]
	v_add_f64 v[120:121], v[120:121], -v[138:139]
	v_fma_f64 v[172:173], v[124:125], s[12:13], v[154:155]
	v_fma_f64 v[124:125], v[124:125], s[12:13], v[130:131]
	;; [unrolled: 1-line block ×3, first 2 shown]
	v_add_f64 v[130:131], v[116:117], v[152:153]
	v_add_f64 v[116:117], v[116:117], -v[152:153]
	v_mul_f64 v[132:133], v[172:173], s[16:17]
	v_mul_f64 v[160:161], v[172:173], s[12:13]
	v_add_f64 v[136:137], v[140:141], v[150:151]
	v_fma_f64 v[144:145], v[156:157], s[12:13], v[132:133]
	v_mul_f64 v[132:133], v[124:125], s[16:17]
	v_mul_f64 v[124:125], v[124:125], s[20:21]
	v_fma_f64 v[172:173], v[156:157], s[6:7], v[160:161]
	v_add_f64 v[154:155], v[126:127], v[144:145]
	v_fma_f64 v[174:175], v[166:167], s[20:21], v[132:133]
	v_mul_f64 v[132:133], v[170:171], s[14:15]
	v_fma_f64 v[166:167], v[166:167], s[6:7], v[124:125]
	v_mul_f64 v[124:125], v[170:171], s[22:23]
	v_add_f64 v[156:157], v[146:147], v[172:173]
	v_add_f64 v[158:159], v[128:129], v[174:175]
	v_fma_f64 v[176:177], v[164:165], s[22:23], v[132:133]
	v_add_f64 v[132:133], v[122:123], v[168:169]
	v_fma_f64 v[170:171], v[164:165], s[4:5], v[124:125]
	v_add_f64 v[160:161], v[148:149], v[166:167]
	v_add_f64 v[124:125], v[126:127], -v[144:145]
	v_add_f64 v[138:139], v[128:129], -v[174:175]
	;; [unrolled: 1-line block ×3, first 2 shown]
	v_add_f64 v[162:163], v[118:119], v[176:177]
	v_add_f64 v[144:145], v[118:119], -v[176:177]
	v_add_f64 v[164:165], v[142:143], v[170:171]
	v_add_f64 v[118:119], v[122:123], -v[168:169]
	v_add_f64 v[122:123], v[140:141], -v[150:151]
	;; [unrolled: 1-line block ×4, first 2 shown]
	ds_write_b128 v196, v[130:133]
	ds_write_b128 v196, v[134:137] offset:80
	ds_write_b128 v196, v[154:157] offset:160
	;; [unrolled: 1-line block ×9, first 2 shown]
	s_waitcnt lgkmcnt(0)
	s_barrier
	ds_read_b128 v[116:119], v193
	ds_read_b128 v[124:127], v193 offset:2400
	ds_read_b128 v[128:131], v193 offset:4800
	;; [unrolled: 1-line block ×9, first 2 shown]
	s_waitcnt lgkmcnt(8)
	v_mul_f64 v[120:121], v[102:103], v[126:127]
	v_mul_f64 v[102:103], v[102:103], v[124:125]
	s_waitcnt lgkmcnt(0)
	s_barrier
	v_fma_f64 v[122:123], v[100:101], v[124:125], v[120:121]
	v_fma_f64 v[100:101], v[100:101], v[126:127], -v[102:103]
	v_mul_f64 v[102:103], v[86:87], v[130:131]
	v_mul_f64 v[86:87], v[86:87], v[128:129]
	v_fma_f64 v[126:127], v[84:85], v[128:129], v[102:103]
	v_fma_f64 v[128:129], v[84:85], v[130:131], -v[86:87]
	v_mul_f64 v[84:85], v[82:83], v[134:135]
	v_mul_f64 v[82:83], v[82:83], v[132:133]
	v_fma_f64 v[120:121], v[80:81], v[132:133], v[84:85]
	v_fma_f64 v[86:87], v[80:81], v[134:135], -v[82:83]
	v_mul_f64 v[80:81], v[106:107], v[138:139]
	v_fma_f64 v[130:131], v[104:105], v[136:137], v[80:81]
	v_mul_f64 v[80:81], v[106:107], v[136:137]
	v_fma_f64 v[132:133], v[104:105], v[138:139], -v[80:81]
	v_mul_f64 v[80:81], v[114:115], v[142:143]
	v_fma_f64 v[104:105], v[112:113], v[140:141], v[80:81]
	v_mul_f64 v[80:81], v[114:115], v[140:141]
	;; [unrolled: 4-line block ×3, first 2 shown]
	v_add_f64 v[82:83], v[130:131], v[106:107]
	v_fma_f64 v[114:115], v[96:97], v[146:147], -v[80:81]
	v_mul_f64 v[80:81], v[110:111], v[150:151]
	v_fma_f64 v[82:83], v[82:83], -0.5, v[116:117]
	v_fma_f64 v[112:113], v[108:109], v[148:149], v[80:81]
	v_mul_f64 v[80:81], v[110:111], v[148:149]
	v_fma_f64 v[96:97], v[108:109], v[150:151], -v[80:81]
	v_mul_f64 v[80:81], v[90:91], v[154:155]
	v_fma_f64 v[98:99], v[88:89], v[152:153], v[80:81]
	v_mul_f64 v[80:81], v[90:91], v[152:153]
	v_add_f64 v[90:91], v[126:127], -v[130:131]
	v_add_f64 v[110:111], v[98:99], -v[106:107]
	v_fma_f64 v[108:109], v[88:89], v[154:155], -v[80:81]
	v_mul_f64 v[80:81], v[94:95], v[158:159]
	v_add_f64 v[134:135], v[106:107], -v[98:99]
	v_add_f64 v[90:91], v[90:91], v[110:111]
	v_add_f64 v[88:89], v[128:129], -v[108:109]
	v_fma_f64 v[124:125], v[92:93], v[156:157], v[80:81]
	v_mul_f64 v[80:81], v[94:95], v[156:157]
	v_fma_f64 v[84:85], v[88:89], s[16:17], v[82:83]
	v_fma_f64 v[82:83], v[88:89], s[6:7], v[82:83]
	v_fma_f64 v[94:95], v[92:93], v[158:159], -v[80:81]
	v_add_f64 v[92:93], v[132:133], -v[114:115]
	v_add_f64 v[80:81], v[116:117], v[126:127]
	v_fma_f64 v[84:85], v[92:93], s[14:15], v[84:85]
	v_fma_f64 v[82:83], v[92:93], s[4:5], v[82:83]
	v_add_f64 v[80:81], v[80:81], v[130:131]
	v_fma_f64 v[84:85], v[90:91], s[12:13], v[84:85]
	v_fma_f64 v[82:83], v[90:91], s[12:13], v[82:83]
	v_add_f64 v[90:91], v[126:127], v[98:99]
	v_add_f64 v[80:81], v[80:81], v[106:107]
	v_fma_f64 v[110:111], v[90:91], -0.5, v[116:117]
	v_add_f64 v[116:117], v[130:131], -v[126:127]
	v_add_f64 v[80:81], v[80:81], v[98:99]
	v_fma_f64 v[90:91], v[92:93], s[6:7], v[110:111]
	v_fma_f64 v[92:93], v[92:93], s[16:17], v[110:111]
	v_add_f64 v[116:117], v[116:117], v[134:135]
	v_add_f64 v[110:111], v[132:133], v[114:115]
	v_add_f64 v[134:135], v[112:113], -v[124:125]
	v_fma_f64 v[90:91], v[88:89], s[14:15], v[90:91]
	v_fma_f64 v[88:89], v[88:89], s[4:5], v[92:93]
	v_fma_f64 v[110:111], v[110:111], -0.5, v[118:119]
	v_fma_f64 v[90:91], v[116:117], s[12:13], v[90:91]
	v_fma_f64 v[92:93], v[116:117], s[12:13], v[88:89]
	v_add_f64 v[116:117], v[126:127], -v[98:99]
	v_add_f64 v[126:127], v[130:131], -v[106:107]
	v_add_f64 v[106:107], v[128:129], -v[132:133]
	v_add_f64 v[130:131], v[108:109], -v[114:115]
	v_add_f64 v[88:89], v[118:119], v[128:129]
	v_fma_f64 v[98:99], v[116:117], s[6:7], v[110:111]
	v_fma_f64 v[110:111], v[116:117], s[16:17], v[110:111]
	v_add_f64 v[106:107], v[106:107], v[130:131]
	v_add_f64 v[88:89], v[88:89], v[132:133]
	v_add_f64 v[130:131], v[120:121], -v[104:105]
	v_fma_f64 v[98:99], v[126:127], s[4:5], v[98:99]
	v_fma_f64 v[110:111], v[126:127], s[14:15], v[110:111]
	v_add_f64 v[88:89], v[88:89], v[114:115]
	v_fma_f64 v[98:99], v[106:107], s[12:13], v[98:99]
	v_fma_f64 v[106:107], v[106:107], s[12:13], v[110:111]
	v_add_f64 v[110:111], v[128:129], v[108:109]
	v_add_f64 v[128:129], v[132:133], -v[128:129]
	v_add_f64 v[88:89], v[88:89], v[108:109]
	v_add_f64 v[108:109], v[114:115], -v[108:109]
	v_add_f64 v[132:133], v[124:125], -v[112:113]
	v_fma_f64 v[110:111], v[110:111], -0.5, v[118:119]
	v_add_f64 v[114:115], v[128:129], v[108:109]
	v_add_f64 v[128:129], v[102:103], -v[96:97]
	v_add_f64 v[130:131], v[130:131], v[132:133]
	v_add_f64 v[132:133], v[104:105], -v[120:121]
	v_fma_f64 v[118:119], v[126:127], s[16:17], v[110:111]
	v_fma_f64 v[110:111], v[126:127], s[6:7], v[110:111]
	v_add_f64 v[132:133], v[132:133], v[134:135]
	v_fma_f64 v[118:119], v[116:117], s[4:5], v[118:119]
	v_fma_f64 v[110:111], v[116:117], s[14:15], v[110:111]
	v_add_f64 v[116:117], v[104:105], v[112:113]
	v_fma_f64 v[108:109], v[114:115], s[12:13], v[118:119]
	v_add_f64 v[118:119], v[86:87], -v[94:95]
	v_fma_f64 v[116:117], v[116:117], -0.5, v[122:123]
	v_fma_f64 v[110:111], v[114:115], s[12:13], v[110:111]
	v_add_f64 v[114:115], v[122:123], v[120:121]
	v_fma_f64 v[126:127], v[118:119], s[16:17], v[116:117]
	v_fma_f64 v[116:117], v[118:119], s[6:7], v[116:117]
	v_add_f64 v[114:115], v[114:115], v[104:105]
	v_add_f64 v[104:105], v[104:105], -v[112:113]
	v_fma_f64 v[126:127], v[128:129], s[14:15], v[126:127]
	v_fma_f64 v[116:117], v[128:129], s[4:5], v[116:117]
	v_add_f64 v[114:115], v[114:115], v[112:113]
	v_fma_f64 v[126:127], v[130:131], s[12:13], v[126:127]
	v_fma_f64 v[130:131], v[130:131], s[12:13], v[116:117]
	v_add_f64 v[116:117], v[120:121], v[124:125]
	v_add_f64 v[114:115], v[114:115], v[124:125]
	v_fma_f64 v[116:117], v[116:117], -0.5, v[122:123]
	v_fma_f64 v[122:123], v[128:129], s[6:7], v[116:117]
	v_fma_f64 v[116:117], v[128:129], s[16:17], v[116:117]
	;; [unrolled: 1-line block ×4, first 2 shown]
	v_add_f64 v[118:119], v[120:121], -v[124:125]
	v_add_f64 v[124:125], v[94:95], -v[96:97]
	v_fma_f64 v[122:123], v[132:133], s[12:13], v[122:123]
	v_fma_f64 v[128:129], v[132:133], s[12:13], v[116:117]
	v_add_f64 v[116:117], v[100:101], v[86:87]
	v_add_f64 v[116:117], v[116:117], v[102:103]
	v_add_f64 v[116:117], v[116:117], v[96:97]
	v_add_f64 v[132:133], v[116:117], v[94:95]
	v_add_f64 v[116:117], v[102:103], v[96:97]
	v_fma_f64 v[116:117], v[116:117], -0.5, v[100:101]
	v_fma_f64 v[120:121], v[118:119], s[6:7], v[116:117]
	v_fma_f64 v[116:117], v[118:119], s[16:17], v[116:117]
	v_fma_f64 v[112:113], v[104:105], s[4:5], v[120:121]
	v_add_f64 v[120:121], v[86:87], -v[102:103]
	v_fma_f64 v[116:117], v[104:105], s[14:15], v[116:117]
	v_add_f64 v[120:121], v[120:121], v[124:125]
	v_fma_f64 v[134:135], v[120:121], s[12:13], v[116:117]
	v_add_f64 v[116:117], v[86:87], v[94:95]
	v_add_f64 v[86:87], v[102:103], -v[86:87]
	v_add_f64 v[94:95], v[96:97], -v[94:95]
	v_fma_f64 v[112:113], v[120:121], s[12:13], v[112:113]
	v_fma_f64 v[100:101], v[116:117], -0.5, v[100:101]
	v_add_f64 v[86:87], v[86:87], v[94:95]
	v_mul_f64 v[96:97], v[112:113], s[14:15]
	v_mul_f64 v[102:103], v[112:113], s[18:19]
	v_fma_f64 v[116:117], v[104:105], s[16:17], v[100:101]
	v_fma_f64 v[94:95], v[104:105], s[6:7], v[100:101]
	;; [unrolled: 1-line block ×6, first 2 shown]
	v_add_f64 v[100:101], v[84:85], v[104:105]
	v_add_f64 v[102:103], v[98:99], v[144:145]
	v_fma_f64 v[136:137], v[86:87], s[12:13], v[116:117]
	v_fma_f64 v[86:87], v[86:87], s[12:13], v[94:95]
	v_add_f64 v[94:95], v[80:81], v[114:115]
	v_mul_f64 v[96:97], v[136:137], s[16:17]
	v_mul_f64 v[112:113], v[136:137], s[12:13]
	v_fma_f64 v[138:139], v[122:123], s[12:13], v[96:97]
	v_mul_f64 v[96:97], v[86:87], s[16:17]
	v_mul_f64 v[86:87], v[86:87], s[20:21]
	v_fma_f64 v[136:137], v[122:123], s[6:7], v[112:113]
	v_add_f64 v[112:113], v[84:85], -v[104:105]
	v_add_f64 v[116:117], v[90:91], v[138:139]
	v_fma_f64 v[140:141], v[128:129], s[20:21], v[96:97]
	v_mul_f64 v[96:97], v[134:135], s[14:15]
	v_fma_f64 v[146:147], v[128:129], s[6:7], v[86:87]
	v_mul_f64 v[86:87], v[134:135], s[22:23]
	v_add_f64 v[118:119], v[108:109], v[136:137]
	v_add_f64 v[90:91], v[90:91], -v[138:139]
	v_add_f64 v[120:121], v[92:93], v[140:141]
	v_fma_f64 v[142:143], v[130:131], s[22:23], v[96:97]
	v_add_f64 v[96:97], v[88:89], v[132:133]
	v_fma_f64 v[134:135], v[130:131], s[4:5], v[86:87]
	v_add_f64 v[122:123], v[110:111], v[146:147]
	v_add_f64 v[86:87], v[80:81], -v[114:115]
	v_add_f64 v[88:89], v[88:89], -v[132:133]
	;; [unrolled: 1-line block ×4, first 2 shown]
	v_add_f64 v[124:125], v[82:83], v[142:143]
	v_add_f64 v[92:93], v[108:109], -v[136:137]
	v_add_f64 v[126:127], v[106:107], v[134:135]
	v_add_f64 v[80:81], v[82:83], -v[142:143]
	v_add_f64 v[130:131], v[110:111], -v[146:147]
	;; [unrolled: 1-line block ×3, first 2 shown]
	ds_write_b128 v195, v[94:97]
	ds_write_b128 v195, v[100:103] offset:800
	ds_write_b128 v195, v[116:119] offset:1600
	;; [unrolled: 1-line block ×9, first 2 shown]
	s_waitcnt lgkmcnt(0)
	s_barrier
	ds_read_b128 v[92:95], v193
	ds_read_b128 v[104:107], v193 offset:8000
	ds_read_b128 v[108:111], v193 offset:16000
	;; [unrolled: 1-line block ×8, first 2 shown]
	s_and_saveexec_b64 s[4:5], s[0:1]
	s_cbranch_execz .LBB0_7
; %bb.6:
	ds_read_b128 v[80:83], v193 offset:7200
	ds_read_b128 v[72:75], v193 offset:15200
	;; [unrolled: 1-line block ×3, first 2 shown]
.LBB0_7:
	s_or_b64 exec, exec, s[4:5]
	s_waitcnt lgkmcnt(7)
	v_mul_f64 v[120:121], v[50:51], v[106:107]
	s_waitcnt lgkmcnt(6)
	v_mul_f64 v[122:123], v[54:55], v[110:111]
	v_mul_f64 v[50:51], v[50:51], v[104:105]
	;; [unrolled: 1-line block ×3, first 2 shown]
	s_waitcnt lgkmcnt(4)
	v_mul_f64 v[124:125], v[58:59], v[102:103]
	s_waitcnt lgkmcnt(3)
	v_mul_f64 v[126:127], v[62:63], v[114:115]
	v_mul_f64 v[58:59], v[58:59], v[100:101]
	;; [unrolled: 1-line block ×3, first 2 shown]
	v_fma_f64 v[104:105], v[48:49], v[104:105], v[120:121]
	v_fma_f64 v[108:109], v[52:53], v[108:109], v[122:123]
	s_waitcnt lgkmcnt(0)
	v_mul_f64 v[122:123], v[66:67], v[98:99]
	v_mul_f64 v[66:67], v[66:67], v[96:97]
	v_fma_f64 v[50:51], v[48:49], v[106:107], -v[50:51]
	v_fma_f64 v[54:55], v[52:53], v[110:111], -v[54:55]
	v_fma_f64 v[100:101], v[56:57], v[100:101], v[124:125]
	v_fma_f64 v[106:107], v[60:61], v[112:113], v[126:127]
	v_mul_f64 v[120:121], v[70:71], v[118:119]
	v_add_f64 v[48:49], v[104:105], v[108:109]
	v_mul_f64 v[70:71], v[70:71], v[116:117]
	v_fma_f64 v[102:103], v[56:57], v[102:103], -v[58:59]
	v_fma_f64 v[62:63], v[60:61], v[114:115], -v[62:63]
	v_add_f64 v[52:53], v[92:93], v[104:105]
	v_add_f64 v[60:61], v[50:51], v[54:55]
	v_add_f64 v[58:59], v[50:51], -v[54:55]
	v_fma_f64 v[110:111], v[68:69], v[116:117], v[120:121]
	v_fma_f64 v[56:57], v[48:49], -0.5, v[92:93]
	v_fma_f64 v[92:93], v[64:65], v[96:97], v[122:123]
	v_fma_f64 v[96:97], v[64:65], v[98:99], -v[66:67]
	v_add_f64 v[64:65], v[100:101], v[106:107]
	v_fma_f64 v[70:71], v[68:69], v[118:119], -v[70:71]
	v_add_f64 v[50:51], v[94:95], v[50:51]
	v_fma_f64 v[60:61], v[60:61], -0.5, v[94:95]
	v_add_f64 v[66:67], v[104:105], -v[108:109]
	v_add_f64 v[68:69], v[84:85], v[100:101]
	v_add_f64 v[94:95], v[102:103], -v[62:63]
	v_add_f64 v[98:99], v[102:103], v[62:63]
	v_fma_f64 v[84:85], v[64:65], -0.5, v[84:85]
	s_mov_b32 s4, 0xe8584caa
	s_mov_b32 s5, 0xbfebb67a
	;; [unrolled: 1-line block ×4, first 2 shown]
	v_add_f64 v[48:49], v[52:53], v[108:109]
	v_fma_f64 v[52:53], v[58:59], s[4:5], v[56:57]
	v_fma_f64 v[56:57], v[58:59], s[6:7], v[56:57]
	v_add_f64 v[50:51], v[50:51], v[54:55]
	v_fma_f64 v[54:55], v[66:67], s[6:7], v[60:61]
	v_fma_f64 v[58:59], v[66:67], s[4:5], v[60:61]
	v_add_f64 v[60:61], v[68:69], v[106:107]
	v_add_f64 v[66:67], v[110:111], v[92:93]
	v_fma_f64 v[64:65], v[94:95], s[4:5], v[84:85]
	v_fma_f64 v[68:69], v[94:95], s[6:7], v[84:85]
	v_add_f64 v[84:85], v[70:71], v[96:97]
	v_add_f64 v[94:95], v[86:87], v[102:103]
	v_fma_f64 v[86:87], v[98:99], -0.5, v[86:87]
	v_add_f64 v[98:99], v[100:101], -v[106:107]
	v_add_f64 v[100:101], v[88:89], v[110:111]
	v_add_f64 v[106:107], v[90:91], v[70:71]
	v_fma_f64 v[102:103], v[66:67], -0.5, v[88:89]
	v_add_f64 v[104:105], v[70:71], -v[96:97]
	v_fma_f64 v[108:109], v[84:85], -0.5, v[90:91]
	v_add_f64 v[110:111], v[110:111], -v[92:93]
	v_add_f64 v[62:63], v[94:95], v[62:63]
	v_fma_f64 v[66:67], v[98:99], s[6:7], v[86:87]
	v_fma_f64 v[70:71], v[98:99], s[4:5], v[86:87]
	v_add_f64 v[84:85], v[100:101], v[92:93]
	v_add_f64 v[86:87], v[106:107], v[96:97]
	v_fma_f64 v[88:89], v[104:105], s[4:5], v[102:103]
	v_fma_f64 v[92:93], v[104:105], s[6:7], v[102:103]
	;; [unrolled: 1-line block ×4, first 2 shown]
	ds_write_b128 v193, v[48:51]
	ds_write_b128 v193, v[52:55] offset:8000
	ds_write_b128 v193, v[56:59] offset:16000
	;; [unrolled: 1-line block ×8, first 2 shown]
	s_and_saveexec_b64 s[12:13], s[0:1]
	s_cbranch_execz .LBB0_9
; %bb.8:
	v_mul_f64 v[48:49], v[42:43], v[72:73]
	v_mul_f64 v[50:51], v[46:47], v[76:77]
	;; [unrolled: 1-line block ×4, first 2 shown]
	v_fma_f64 v[48:49], v[40:41], v[74:75], -v[48:49]
	v_fma_f64 v[50:51], v[44:45], v[78:79], -v[50:51]
	v_fma_f64 v[40:41], v[40:41], v[72:73], v[42:43]
	v_fma_f64 v[44:45], v[44:45], v[76:77], v[46:47]
	v_add_f64 v[54:55], v[82:83], v[48:49]
	v_add_f64 v[42:43], v[48:49], v[50:51]
	v_add_f64 v[58:59], v[48:49], -v[50:51]
	v_add_f64 v[46:47], v[40:41], v[44:45]
	v_add_f64 v[52:53], v[40:41], -v[44:45]
	v_add_f64 v[40:41], v[80:81], v[40:41]
	v_fma_f64 v[56:57], v[42:43], -0.5, v[82:83]
	v_add_f64 v[42:43], v[54:55], v[50:51]
	v_fma_f64 v[60:61], v[46:47], -0.5, v[80:81]
	v_add_f64 v[40:41], v[40:41], v[44:45]
	v_fma_f64 v[50:51], v[52:53], s[6:7], v[56:57]
	v_fma_f64 v[46:47], v[52:53], s[4:5], v[56:57]
	;; [unrolled: 1-line block ×4, first 2 shown]
	ds_write_b128 v193, v[40:43] offset:7200
	ds_write_b128 v193, v[48:51] offset:15200
	;; [unrolled: 1-line block ×3, first 2 shown]
.LBB0_9:
	s_or_b64 exec, exec, s[12:13]
	s_waitcnt lgkmcnt(0)
	s_barrier
	ds_read_b128 v[40:43], v193
	ds_read_b128 v[44:47], v193 offset:2400
	v_mad_u64_u32 v[48:49], s[0:1], s10, v192, 0
	v_mov_b32_e32 v58, s3
	s_waitcnt lgkmcnt(1)
	v_mul_f64 v[50:51], v[38:39], v[42:43]
	v_mul_f64 v[38:39], v[38:39], v[40:41]
	s_mul_hi_u32 s3, s8, 0x12c0
	v_mad_u64_u32 v[52:53], s[0:1], s11, v192, v[49:50]
	v_fma_f64 v[40:41], v[36:37], v[40:41], v[50:51]
	v_fma_f64 v[38:39], v[36:37], v[42:43], -v[38:39]
	v_mov_b32_e32 v49, v52
	v_mad_u64_u32 v[52:53], s[0:1], s8, v194, 0
	s_mov_b32 s0, 0xc3ece2a5
	s_mov_b32 s1, 0x3f45d867
	v_mov_b32_e32 v36, v53
	v_mad_u64_u32 v[50:51], s[4:5], s9, v194, v[36:37]
	v_mul_f64 v[36:37], v[40:41], s[0:1]
	ds_read_b128 v[40:43], v193 offset:4800
	v_mov_b32_e32 v53, v50
	v_lshlrev_b64 v[54:55], 4, v[48:49]
	ds_read_b128 v[48:51], v193 offset:7200
	v_mul_f64 v[38:39], v[38:39], s[0:1]
	s_waitcnt lgkmcnt(1)
	v_mul_f64 v[56:57], v[2:3], v[42:43]
	v_mul_f64 v[2:3], v[2:3], v[40:41]
	v_add_co_u32_e32 v54, vcc, s2, v54
	v_lshlrev_b64 v[52:53], 4, v[52:53]
	v_addc_co_u32_e32 v55, vcc, v58, v55, vcc
	s_mul_i32 s2, s9, 0x12c0
	v_fma_f64 v[40:41], v[0:1], v[40:41], v[56:57]
	v_fma_f64 v[42:43], v[0:1], v[42:43], -v[2:3]
	ds_read_b128 v[0:3], v193 offset:9600
	v_add_co_u32_e32 v56, vcc, v54, v52
	v_addc_co_u32_e32 v57, vcc, v55, v53, vcc
	global_store_dwordx4 v[56:57], v[36:39], off
	ds_read_b128 v[52:55], v193 offset:14400
	v_mul_f64 v[36:37], v[40:41], s[0:1]
	v_mul_f64 v[38:39], v[42:43], s[0:1]
	ds_read_b128 v[40:43], v193 offset:12000
	s_waitcnt lgkmcnt(2)
	v_mul_f64 v[58:59], v[6:7], v[2:3]
	v_mul_f64 v[6:7], v[6:7], v[0:1]
	s_add_i32 s4, s3, s2
	s_mul_i32 s5, s8, 0x12c0
	v_mov_b32_e32 v62, s4
	v_add_co_u32_e32 v56, vcc, s5, v56
	v_addc_co_u32_e32 v57, vcc, v57, v62, vcc
	v_fma_f64 v[58:59], v[4:5], v[0:1], v[58:59]
	v_fma_f64 v[6:7], v[4:5], v[2:3], -v[6:7]
	ds_read_b128 v[0:3], v193 offset:16800
	s_waitcnt lgkmcnt(2)
	v_mul_f64 v[60:61], v[10:11], v[54:55]
	v_mul_f64 v[10:11], v[10:11], v[52:53]
	global_store_dwordx4 v[56:57], v[36:39], off
	ds_read_b128 v[36:39], v193 offset:19200
	v_add_co_u32_e32 v56, vcc, s5, v56
	v_mul_f64 v[4:5], v[58:59], s[0:1]
	v_mul_f64 v[6:7], v[6:7], s[0:1]
	v_fma_f64 v[52:53], v[8:9], v[52:53], v[60:61]
	v_fma_f64 v[54:55], v[8:9], v[54:55], -v[10:11]
	ds_read_b128 v[8:11], v193 offset:21600
	s_waitcnt lgkmcnt(1)
	v_mul_f64 v[58:59], v[18:19], v[38:39]
	v_mul_f64 v[18:19], v[18:19], v[36:37]
	v_addc_co_u32_e32 v57, vcc, v57, v62, vcc
	global_store_dwordx4 v[56:57], v[4:7], off
	v_fma_f64 v[36:37], v[16:17], v[36:37], v[58:59]
	v_mul_f64 v[4:5], v[52:53], s[0:1]
	v_mul_f64 v[6:7], v[54:55], s[0:1]
	v_fma_f64 v[16:17], v[16:17], v[38:39], -v[18:19]
	v_mul_f64 v[18:19], v[14:15], v[46:47]
	v_mul_f64 v[14:15], v[14:15], v[44:45]
	v_mov_b32_e32 v52, s4
	v_add_co_u32_e32 v38, vcc, s5, v56
	v_addc_co_u32_e32 v39, vcc, v57, v52, vcc
	global_store_dwordx4 v[38:39], v[4:7], off
	s_nop 0
	v_mul_f64 v[4:5], v[36:37], s[0:1]
	v_mul_f64 v[6:7], v[16:17], s[0:1]
	v_fma_f64 v[16:17], v[12:13], v[44:45], v[18:19]
	v_fma_f64 v[12:13], v[12:13], v[46:47], -v[14:15]
	v_mul_f64 v[18:19], v[22:23], v[50:51]
	v_mul_f64 v[22:23], v[22:23], v[48:49]
	v_mov_b32_e32 v36, s4
	v_add_co_u32_e32 v14, vcc, s5, v38
	v_addc_co_u32_e32 v15, vcc, v39, v36, vcc
	global_store_dwordx4 v[14:15], v[4:7], off
	s_nop 0
	v_mul_f64 v[6:7], v[12:13], s[0:1]
	v_mov_b32_e32 v12, 0xffffbe60
	v_mul_f64 v[4:5], v[16:17], s[0:1]
	v_mad_u64_u32 v[12:13], s[2:3], s8, v12, v[14:15]
	v_fma_f64 v[14:15], v[20:21], v[48:49], v[18:19]
	v_fma_f64 v[16:17], v[20:21], v[50:51], -v[22:23]
	v_mul_f64 v[18:19], v[26:27], v[42:43]
	v_mul_f64 v[20:21], v[26:27], v[40:41]
	s_mul_i32 s2, s9, 0xffffbe60
	s_sub_i32 s2, s2, s8
	v_add_u32_e32 v13, s2, v13
	global_store_dwordx4 v[12:13], v[4:7], off
	v_mov_b32_e32 v22, s4
	v_mul_f64 v[4:5], v[14:15], s[0:1]
	v_mul_f64 v[6:7], v[16:17], s[0:1]
	v_fma_f64 v[14:15], v[24:25], v[40:41], v[18:19]
	v_fma_f64 v[16:17], v[24:25], v[42:43], -v[20:21]
	v_mul_f64 v[18:19], v[30:31], v[2:3]
	v_mul_f64 v[20:21], v[30:31], v[0:1]
	v_add_co_u32_e32 v12, vcc, s5, v12
	v_addc_co_u32_e32 v13, vcc, v13, v22, vcc
	s_waitcnt lgkmcnt(0)
	v_mul_f64 v[22:23], v[34:35], v[10:11]
	v_mul_f64 v[24:25], v[34:35], v[8:9]
	v_fma_f64 v[0:1], v[28:29], v[0:1], v[18:19]
	v_fma_f64 v[2:3], v[28:29], v[2:3], -v[20:21]
	global_store_dwordx4 v[12:13], v[4:7], off
	v_add_co_u32_e32 v12, vcc, s5, v12
	v_mul_f64 v[4:5], v[14:15], s[0:1]
	v_mul_f64 v[6:7], v[16:17], s[0:1]
	v_fma_f64 v[8:9], v[32:33], v[8:9], v[22:23]
	v_fma_f64 v[10:11], v[32:33], v[10:11], -v[24:25]
	v_mov_b32_e32 v14, s4
	v_mul_f64 v[0:1], v[0:1], s[0:1]
	v_mul_f64 v[2:3], v[2:3], s[0:1]
	v_addc_co_u32_e32 v13, vcc, v13, v14, vcc
	global_store_dwordx4 v[12:13], v[4:7], off
	s_nop 0
	v_mul_f64 v[4:5], v[8:9], s[0:1]
	v_mul_f64 v[6:7], v[10:11], s[0:1]
	v_add_co_u32_e32 v8, vcc, s5, v12
	v_addc_co_u32_e32 v9, vcc, v13, v14, vcc
	global_store_dwordx4 v[8:9], v[0:3], off
	s_nop 0
	v_mov_b32_e32 v1, s4
	v_add_co_u32_e32 v0, vcc, s5, v8
	v_addc_co_u32_e32 v1, vcc, v9, v1, vcc
	global_store_dwordx4 v[0:1], v[4:7], off
.LBB0_10:
	s_endpgm
	.section	.rodata,"a",@progbits
	.p2align	6, 0x0
	.amdhsa_kernel bluestein_single_fwd_len1500_dim1_dp_op_CI_CI
		.amdhsa_group_segment_fixed_size 24000
		.amdhsa_private_segment_fixed_size 0
		.amdhsa_kernarg_size 104
		.amdhsa_user_sgpr_count 6
		.amdhsa_user_sgpr_private_segment_buffer 1
		.amdhsa_user_sgpr_dispatch_ptr 0
		.amdhsa_user_sgpr_queue_ptr 0
		.amdhsa_user_sgpr_kernarg_segment_ptr 1
		.amdhsa_user_sgpr_dispatch_id 0
		.amdhsa_user_sgpr_flat_scratch_init 0
		.amdhsa_user_sgpr_private_segment_size 0
		.amdhsa_uses_dynamic_stack 0
		.amdhsa_system_sgpr_private_segment_wavefront_offset 0
		.amdhsa_system_sgpr_workgroup_id_x 1
		.amdhsa_system_sgpr_workgroup_id_y 0
		.amdhsa_system_sgpr_workgroup_id_z 0
		.amdhsa_system_sgpr_workgroup_info 0
		.amdhsa_system_vgpr_workitem_id 0
		.amdhsa_next_free_vgpr 227
		.amdhsa_next_free_sgpr 26
		.amdhsa_reserve_vcc 1
		.amdhsa_reserve_flat_scratch 0
		.amdhsa_float_round_mode_32 0
		.amdhsa_float_round_mode_16_64 0
		.amdhsa_float_denorm_mode_32 3
		.amdhsa_float_denorm_mode_16_64 3
		.amdhsa_dx10_clamp 1
		.amdhsa_ieee_mode 1
		.amdhsa_fp16_overflow 0
		.amdhsa_exception_fp_ieee_invalid_op 0
		.amdhsa_exception_fp_denorm_src 0
		.amdhsa_exception_fp_ieee_div_zero 0
		.amdhsa_exception_fp_ieee_overflow 0
		.amdhsa_exception_fp_ieee_underflow 0
		.amdhsa_exception_fp_ieee_inexact 0
		.amdhsa_exception_int_div_zero 0
	.end_amdhsa_kernel
	.text
.Lfunc_end0:
	.size	bluestein_single_fwd_len1500_dim1_dp_op_CI_CI, .Lfunc_end0-bluestein_single_fwd_len1500_dim1_dp_op_CI_CI
                                        ; -- End function
	.section	.AMDGPU.csdata,"",@progbits
; Kernel info:
; codeLenInByte = 14208
; NumSgprs: 30
; NumVgprs: 227
; ScratchSize: 0
; MemoryBound: 0
; FloatMode: 240
; IeeeMode: 1
; LDSByteSize: 24000 bytes/workgroup (compile time only)
; SGPRBlocks: 3
; VGPRBlocks: 56
; NumSGPRsForWavesPerEU: 30
; NumVGPRsForWavesPerEU: 227
; Occupancy: 1
; WaveLimiterHint : 1
; COMPUTE_PGM_RSRC2:SCRATCH_EN: 0
; COMPUTE_PGM_RSRC2:USER_SGPR: 6
; COMPUTE_PGM_RSRC2:TRAP_HANDLER: 0
; COMPUTE_PGM_RSRC2:TGID_X_EN: 1
; COMPUTE_PGM_RSRC2:TGID_Y_EN: 0
; COMPUTE_PGM_RSRC2:TGID_Z_EN: 0
; COMPUTE_PGM_RSRC2:TIDIG_COMP_CNT: 0
	.type	__hip_cuid_66eee2af5371bdb0,@object ; @__hip_cuid_66eee2af5371bdb0
	.section	.bss,"aw",@nobits
	.globl	__hip_cuid_66eee2af5371bdb0
__hip_cuid_66eee2af5371bdb0:
	.byte	0                               ; 0x0
	.size	__hip_cuid_66eee2af5371bdb0, 1

	.ident	"AMD clang version 19.0.0git (https://github.com/RadeonOpenCompute/llvm-project roc-6.4.0 25133 c7fe45cf4b819c5991fe208aaa96edf142730f1d)"
	.section	".note.GNU-stack","",@progbits
	.addrsig
	.addrsig_sym __hip_cuid_66eee2af5371bdb0
	.amdgpu_metadata
---
amdhsa.kernels:
  - .args:
      - .actual_access:  read_only
        .address_space:  global
        .offset:         0
        .size:           8
        .value_kind:     global_buffer
      - .actual_access:  read_only
        .address_space:  global
        .offset:         8
        .size:           8
        .value_kind:     global_buffer
      - .actual_access:  read_only
        .address_space:  global
        .offset:         16
        .size:           8
        .value_kind:     global_buffer
      - .actual_access:  read_only
        .address_space:  global
        .offset:         24
        .size:           8
        .value_kind:     global_buffer
      - .actual_access:  read_only
        .address_space:  global
        .offset:         32
        .size:           8
        .value_kind:     global_buffer
      - .offset:         40
        .size:           8
        .value_kind:     by_value
      - .address_space:  global
        .offset:         48
        .size:           8
        .value_kind:     global_buffer
      - .address_space:  global
        .offset:         56
        .size:           8
        .value_kind:     global_buffer
      - .address_space:  global
        .offset:         64
        .size:           8
        .value_kind:     global_buffer
      - .address_space:  global
        .offset:         72
        .size:           8
        .value_kind:     global_buffer
      - .offset:         80
        .size:           4
        .value_kind:     by_value
      - .address_space:  global
        .offset:         88
        .size:           8
        .value_kind:     global_buffer
      - .address_space:  global
        .offset:         96
        .size:           8
        .value_kind:     global_buffer
    .group_segment_fixed_size: 24000
    .kernarg_segment_align: 8
    .kernarg_segment_size: 104
    .language:       OpenCL C
    .language_version:
      - 2
      - 0
    .max_flat_workgroup_size: 150
    .name:           bluestein_single_fwd_len1500_dim1_dp_op_CI_CI
    .private_segment_fixed_size: 0
    .sgpr_count:     30
    .sgpr_spill_count: 0
    .symbol:         bluestein_single_fwd_len1500_dim1_dp_op_CI_CI.kd
    .uniform_work_group_size: 1
    .uses_dynamic_stack: false
    .vgpr_count:     227
    .vgpr_spill_count: 0
    .wavefront_size: 64
amdhsa.target:   amdgcn-amd-amdhsa--gfx906
amdhsa.version:
  - 1
  - 2
...

	.end_amdgpu_metadata
